;; amdgpu-corpus repo=ROCm/rocFFT kind=compiled arch=gfx1201 opt=O3
	.text
	.amdgcn_target "amdgcn-amd-amdhsa--gfx1201"
	.amdhsa_code_object_version 6
	.protected	fft_rtc_fwd_len3750_factors_3_5_5_10_5_wgs_125_tpt_125_halfLds_dp_ip_CI_unitstride_sbrr_R2C_dirReg ; -- Begin function fft_rtc_fwd_len3750_factors_3_5_5_10_5_wgs_125_tpt_125_halfLds_dp_ip_CI_unitstride_sbrr_R2C_dirReg
	.globl	fft_rtc_fwd_len3750_factors_3_5_5_10_5_wgs_125_tpt_125_halfLds_dp_ip_CI_unitstride_sbrr_R2C_dirReg
	.p2align	8
	.type	fft_rtc_fwd_len3750_factors_3_5_5_10_5_wgs_125_tpt_125_halfLds_dp_ip_CI_unitstride_sbrr_R2C_dirReg,@function
fft_rtc_fwd_len3750_factors_3_5_5_10_5_wgs_125_tpt_125_halfLds_dp_ip_CI_unitstride_sbrr_R2C_dirReg: ; @fft_rtc_fwd_len3750_factors_3_5_5_10_5_wgs_125_tpt_125_halfLds_dp_ip_CI_unitstride_sbrr_R2C_dirReg
; %bb.0:
	s_clause 0x2
	s_load_b128 s[4:7], s[0:1], 0x0
	s_load_b64 s[8:9], s[0:1], 0x50
	s_load_b64 s[10:11], s[0:1], 0x18
	v_mul_u32_u24_e32 v1, 0x20d, v0
	v_mov_b32_e32 v3, 0
	s_delay_alu instid0(VALU_DEP_2) | instskip(NEXT) | instid1(VALU_DEP_1)
	v_lshrrev_b32_e32 v1, 16, v1
	v_add_nc_u32_e32 v5, ttmp9, v1
	v_mov_b32_e32 v1, 0
	v_mov_b32_e32 v2, 0
	;; [unrolled: 1-line block ×3, first 2 shown]
	s_wait_kmcnt 0x0
	v_cmp_lt_u64_e64 s2, s[6:7], 2
	s_delay_alu instid0(VALU_DEP_1)
	s_and_b32 vcc_lo, exec_lo, s2
	s_cbranch_vccnz .LBB0_8
; %bb.1:
	s_load_b64 s[2:3], s[0:1], 0x10
	v_mov_b32_e32 v1, 0
	v_mov_b32_e32 v2, 0
	s_add_nc_u64 s[12:13], s[10:11], 8
	s_mov_b64 s[14:15], 1
	s_wait_kmcnt 0x0
	s_add_nc_u64 s[16:17], s[2:3], 8
	s_mov_b32 s3, 0
.LBB0_2:                                ; =>This Inner Loop Header: Depth=1
	s_load_b64 s[18:19], s[16:17], 0x0
                                        ; implicit-def: $vgpr7_vgpr8
	s_mov_b32 s2, exec_lo
	s_wait_kmcnt 0x0
	v_or_b32_e32 v4, s19, v6
	s_delay_alu instid0(VALU_DEP_1)
	v_cmpx_ne_u64_e32 0, v[3:4]
	s_wait_alu 0xfffe
	s_xor_b32 s20, exec_lo, s2
	s_cbranch_execz .LBB0_4
; %bb.3:                                ;   in Loop: Header=BB0_2 Depth=1
	s_cvt_f32_u32 s2, s18
	s_cvt_f32_u32 s21, s19
	s_sub_nc_u64 s[24:25], 0, s[18:19]
	s_wait_alu 0xfffe
	s_delay_alu instid0(SALU_CYCLE_1) | instskip(SKIP_1) | instid1(SALU_CYCLE_2)
	s_fmamk_f32 s2, s21, 0x4f800000, s2
	s_wait_alu 0xfffe
	v_s_rcp_f32 s2, s2
	s_delay_alu instid0(TRANS32_DEP_1) | instskip(SKIP_1) | instid1(SALU_CYCLE_2)
	s_mul_f32 s2, s2, 0x5f7ffffc
	s_wait_alu 0xfffe
	s_mul_f32 s21, s2, 0x2f800000
	s_wait_alu 0xfffe
	s_delay_alu instid0(SALU_CYCLE_2) | instskip(SKIP_1) | instid1(SALU_CYCLE_2)
	s_trunc_f32 s21, s21
	s_wait_alu 0xfffe
	s_fmamk_f32 s2, s21, 0xcf800000, s2
	s_cvt_u32_f32 s23, s21
	s_wait_alu 0xfffe
	s_delay_alu instid0(SALU_CYCLE_1) | instskip(SKIP_1) | instid1(SALU_CYCLE_2)
	s_cvt_u32_f32 s22, s2
	s_wait_alu 0xfffe
	s_mul_u64 s[26:27], s[24:25], s[22:23]
	s_wait_alu 0xfffe
	s_mul_hi_u32 s29, s22, s27
	s_mul_i32 s28, s22, s27
	s_mul_hi_u32 s2, s22, s26
	s_mul_i32 s30, s23, s26
	s_wait_alu 0xfffe
	s_add_nc_u64 s[28:29], s[2:3], s[28:29]
	s_mul_hi_u32 s21, s23, s26
	s_mul_hi_u32 s31, s23, s27
	s_add_co_u32 s2, s28, s30
	s_wait_alu 0xfffe
	s_add_co_ci_u32 s2, s29, s21
	s_mul_i32 s26, s23, s27
	s_add_co_ci_u32 s27, s31, 0
	s_wait_alu 0xfffe
	s_add_nc_u64 s[26:27], s[2:3], s[26:27]
	s_wait_alu 0xfffe
	v_add_co_u32 v4, s2, s22, s26
	s_delay_alu instid0(VALU_DEP_1) | instskip(SKIP_1) | instid1(VALU_DEP_1)
	s_cmp_lg_u32 s2, 0
	s_add_co_ci_u32 s23, s23, s27
	v_readfirstlane_b32 s22, v4
	s_wait_alu 0xfffe
	s_delay_alu instid0(VALU_DEP_1)
	s_mul_u64 s[24:25], s[24:25], s[22:23]
	s_wait_alu 0xfffe
	s_mul_hi_u32 s27, s22, s25
	s_mul_i32 s26, s22, s25
	s_mul_hi_u32 s2, s22, s24
	s_mul_i32 s28, s23, s24
	s_wait_alu 0xfffe
	s_add_nc_u64 s[26:27], s[2:3], s[26:27]
	s_mul_hi_u32 s21, s23, s24
	s_mul_hi_u32 s22, s23, s25
	s_wait_alu 0xfffe
	s_add_co_u32 s2, s26, s28
	s_add_co_ci_u32 s2, s27, s21
	s_mul_i32 s24, s23, s25
	s_add_co_ci_u32 s25, s22, 0
	s_wait_alu 0xfffe
	s_add_nc_u64 s[24:25], s[2:3], s[24:25]
	s_wait_alu 0xfffe
	v_add_co_u32 v4, s2, v4, s24
	s_delay_alu instid0(VALU_DEP_1) | instskip(SKIP_1) | instid1(VALU_DEP_1)
	s_cmp_lg_u32 s2, 0
	s_add_co_ci_u32 s2, s23, s25
	v_mul_hi_u32 v13, v5, v4
	s_wait_alu 0xfffe
	v_mad_co_u64_u32 v[7:8], null, v5, s2, 0
	v_mad_co_u64_u32 v[9:10], null, v6, v4, 0
	;; [unrolled: 1-line block ×3, first 2 shown]
	s_delay_alu instid0(VALU_DEP_3) | instskip(SKIP_1) | instid1(VALU_DEP_4)
	v_add_co_u32 v4, vcc_lo, v13, v7
	s_wait_alu 0xfffd
	v_add_co_ci_u32_e32 v7, vcc_lo, 0, v8, vcc_lo
	s_delay_alu instid0(VALU_DEP_2) | instskip(SKIP_1) | instid1(VALU_DEP_2)
	v_add_co_u32 v4, vcc_lo, v4, v9
	s_wait_alu 0xfffd
	v_add_co_ci_u32_e32 v4, vcc_lo, v7, v10, vcc_lo
	s_wait_alu 0xfffd
	v_add_co_ci_u32_e32 v7, vcc_lo, 0, v12, vcc_lo
	s_delay_alu instid0(VALU_DEP_2) | instskip(SKIP_1) | instid1(VALU_DEP_2)
	v_add_co_u32 v4, vcc_lo, v4, v11
	s_wait_alu 0xfffd
	v_add_co_ci_u32_e32 v9, vcc_lo, 0, v7, vcc_lo
	s_delay_alu instid0(VALU_DEP_2) | instskip(SKIP_1) | instid1(VALU_DEP_3)
	v_mul_lo_u32 v10, s19, v4
	v_mad_co_u64_u32 v[7:8], null, s18, v4, 0
	v_mul_lo_u32 v11, s18, v9
	s_delay_alu instid0(VALU_DEP_2) | instskip(NEXT) | instid1(VALU_DEP_2)
	v_sub_co_u32 v7, vcc_lo, v5, v7
	v_add3_u32 v8, v8, v11, v10
	s_delay_alu instid0(VALU_DEP_1) | instskip(SKIP_1) | instid1(VALU_DEP_1)
	v_sub_nc_u32_e32 v10, v6, v8
	s_wait_alu 0xfffd
	v_subrev_co_ci_u32_e64 v10, s2, s19, v10, vcc_lo
	v_add_co_u32 v11, s2, v4, 2
	s_wait_alu 0xf1ff
	v_add_co_ci_u32_e64 v12, s2, 0, v9, s2
	v_sub_co_u32 v13, s2, v7, s18
	v_sub_co_ci_u32_e32 v8, vcc_lo, v6, v8, vcc_lo
	s_wait_alu 0xf1ff
	v_subrev_co_ci_u32_e64 v10, s2, 0, v10, s2
	s_delay_alu instid0(VALU_DEP_3) | instskip(NEXT) | instid1(VALU_DEP_3)
	v_cmp_le_u32_e32 vcc_lo, s18, v13
	v_cmp_eq_u32_e64 s2, s19, v8
	s_wait_alu 0xfffd
	v_cndmask_b32_e64 v13, 0, -1, vcc_lo
	v_cmp_le_u32_e32 vcc_lo, s19, v10
	s_wait_alu 0xfffd
	v_cndmask_b32_e64 v14, 0, -1, vcc_lo
	v_cmp_le_u32_e32 vcc_lo, s18, v7
	;; [unrolled: 3-line block ×3, first 2 shown]
	s_wait_alu 0xfffd
	v_cndmask_b32_e64 v15, 0, -1, vcc_lo
	v_cmp_eq_u32_e32 vcc_lo, s19, v10
	s_wait_alu 0xf1ff
	s_delay_alu instid0(VALU_DEP_2)
	v_cndmask_b32_e64 v7, v15, v7, s2
	s_wait_alu 0xfffd
	v_cndmask_b32_e32 v10, v14, v13, vcc_lo
	v_add_co_u32 v13, vcc_lo, v4, 1
	s_wait_alu 0xfffd
	v_add_co_ci_u32_e32 v14, vcc_lo, 0, v9, vcc_lo
	s_delay_alu instid0(VALU_DEP_3) | instskip(SKIP_2) | instid1(VALU_DEP_3)
	v_cmp_ne_u32_e32 vcc_lo, 0, v10
	s_wait_alu 0xfffd
	v_cndmask_b32_e32 v10, v13, v11, vcc_lo
	v_cndmask_b32_e32 v8, v14, v12, vcc_lo
	v_cmp_ne_u32_e32 vcc_lo, 0, v7
	s_wait_alu 0xfffd
	s_delay_alu instid0(VALU_DEP_2)
	v_dual_cndmask_b32 v7, v4, v10 :: v_dual_cndmask_b32 v8, v9, v8
.LBB0_4:                                ;   in Loop: Header=BB0_2 Depth=1
	s_wait_alu 0xfffe
	s_and_not1_saveexec_b32 s2, s20
	s_cbranch_execz .LBB0_6
; %bb.5:                                ;   in Loop: Header=BB0_2 Depth=1
	v_cvt_f32_u32_e32 v4, s18
	s_sub_co_i32 s20, 0, s18
	s_delay_alu instid0(VALU_DEP_1) | instskip(NEXT) | instid1(TRANS32_DEP_1)
	v_rcp_iflag_f32_e32 v4, v4
	v_mul_f32_e32 v4, 0x4f7ffffe, v4
	s_delay_alu instid0(VALU_DEP_1) | instskip(SKIP_1) | instid1(VALU_DEP_1)
	v_cvt_u32_f32_e32 v4, v4
	s_wait_alu 0xfffe
	v_mul_lo_u32 v7, s20, v4
	s_delay_alu instid0(VALU_DEP_1) | instskip(NEXT) | instid1(VALU_DEP_1)
	v_mul_hi_u32 v7, v4, v7
	v_add_nc_u32_e32 v4, v4, v7
	s_delay_alu instid0(VALU_DEP_1) | instskip(NEXT) | instid1(VALU_DEP_1)
	v_mul_hi_u32 v4, v5, v4
	v_mul_lo_u32 v7, v4, s18
	v_add_nc_u32_e32 v8, 1, v4
	s_delay_alu instid0(VALU_DEP_2) | instskip(NEXT) | instid1(VALU_DEP_1)
	v_sub_nc_u32_e32 v7, v5, v7
	v_subrev_nc_u32_e32 v9, s18, v7
	v_cmp_le_u32_e32 vcc_lo, s18, v7
	s_wait_alu 0xfffd
	s_delay_alu instid0(VALU_DEP_2) | instskip(NEXT) | instid1(VALU_DEP_1)
	v_dual_cndmask_b32 v7, v7, v9 :: v_dual_cndmask_b32 v4, v4, v8
	v_cmp_le_u32_e32 vcc_lo, s18, v7
	s_delay_alu instid0(VALU_DEP_2) | instskip(SKIP_1) | instid1(VALU_DEP_1)
	v_add_nc_u32_e32 v8, 1, v4
	s_wait_alu 0xfffd
	v_dual_cndmask_b32 v7, v4, v8 :: v_dual_mov_b32 v8, v3
.LBB0_6:                                ;   in Loop: Header=BB0_2 Depth=1
	s_wait_alu 0xfffe
	s_or_b32 exec_lo, exec_lo, s2
	s_load_b64 s[20:21], s[12:13], 0x0
	s_delay_alu instid0(VALU_DEP_1)
	v_mul_lo_u32 v4, v8, s18
	v_mul_lo_u32 v11, v7, s19
	v_mad_co_u64_u32 v[9:10], null, v7, s18, 0
	s_add_nc_u64 s[14:15], s[14:15], 1
	s_add_nc_u64 s[12:13], s[12:13], 8
	s_wait_alu 0xfffe
	v_cmp_ge_u64_e64 s2, s[14:15], s[6:7]
	s_add_nc_u64 s[16:17], s[16:17], 8
	s_delay_alu instid0(VALU_DEP_2) | instskip(NEXT) | instid1(VALU_DEP_3)
	v_add3_u32 v4, v10, v11, v4
	v_sub_co_u32 v5, vcc_lo, v5, v9
	s_wait_alu 0xfffd
	s_delay_alu instid0(VALU_DEP_2) | instskip(SKIP_3) | instid1(VALU_DEP_2)
	v_sub_co_ci_u32_e32 v4, vcc_lo, v6, v4, vcc_lo
	s_and_b32 vcc_lo, exec_lo, s2
	s_wait_kmcnt 0x0
	v_mul_lo_u32 v6, s21, v5
	v_mul_lo_u32 v4, s20, v4
	v_mad_co_u64_u32 v[1:2], null, s20, v5, v[1:2]
	s_delay_alu instid0(VALU_DEP_1)
	v_add3_u32 v2, v6, v2, v4
	s_wait_alu 0xfffe
	s_cbranch_vccnz .LBB0_9
; %bb.7:                                ;   in Loop: Header=BB0_2 Depth=1
	v_dual_mov_b32 v5, v7 :: v_dual_mov_b32 v6, v8
	s_branch .LBB0_2
.LBB0_8:
	v_dual_mov_b32 v8, v6 :: v_dual_mov_b32 v7, v5
.LBB0_9:
	s_lshl_b64 s[2:3], s[6:7], 3
	v_mul_hi_u32 v3, 0x20c49bb, v0
	s_wait_alu 0xfffe
	s_add_nc_u64 s[2:3], s[10:11], s[2:3]
	s_load_b64 s[0:1], s[0:1], 0x20
	s_load_b64 s[2:3], s[2:3], 0x0
	s_delay_alu instid0(VALU_DEP_1) | instskip(NEXT) | instid1(VALU_DEP_1)
	v_mul_u32_u24_e32 v3, 0x7d, v3
	v_sub_nc_u32_e32 v124, v0, v3
	s_delay_alu instid0(VALU_DEP_1)
	v_add_nc_u32_e32 v129, 0x7d, v124
	v_add_nc_u32_e32 v135, 0xfa, v124
	;; [unrolled: 1-line block ×4, first 2 shown]
	s_wait_kmcnt 0x0
	v_cmp_gt_u64_e32 vcc_lo, s[0:1], v[7:8]
	v_mul_lo_u32 v3, s2, v8
	v_mul_lo_u32 v4, s3, v7
	v_mad_co_u64_u32 v[0:1], null, s2, v7, v[1:2]
	v_cmp_le_u64_e64 s0, s[0:1], v[7:8]
	v_add_nc_u32_e32 v132, 0x271, v124
	v_add_nc_u32_e32 v131, 0x2ee, v124
	;; [unrolled: 1-line block ×3, first 2 shown]
	v_add3_u32 v1, v4, v1, v3
	s_and_saveexec_b32 s1, s0
	s_wait_alu 0xfffe
	s_xor_b32 s0, exec_lo, s1
; %bb.10:
	v_add_nc_u32_e32 v129, 0x7d, v124
	v_add_nc_u32_e32 v135, 0xfa, v124
	;; [unrolled: 1-line block ×7, first 2 shown]
; %bb.11:
	s_wait_alu 0xfffe
	s_or_saveexec_b32 s1, s0
	v_lshlrev_b64_e32 v[126:127], 4, v[0:1]
	s_wait_alu 0xfffe
	s_xor_b32 exec_lo, exec_lo, s1
	s_cbranch_execz .LBB0_13
; %bb.12:
	v_mov_b32_e32 v125, 0
	s_delay_alu instid0(VALU_DEP_2) | instskip(SKIP_2) | instid1(VALU_DEP_3)
	v_add_co_u32 v2, s0, s8, v126
	s_wait_alu 0xf1ff
	v_add_co_ci_u32_e64 v3, s0, s9, v127, s0
	v_lshlrev_b64_e32 v[0:1], 4, v[124:125]
	v_lshl_add_u32 v120, v124, 4, 0
	s_delay_alu instid0(VALU_DEP_2) | instskip(SKIP_1) | instid1(VALU_DEP_3)
	v_add_co_u32 v116, s0, v2, v0
	s_wait_alu 0xf1ff
	v_add_co_ci_u32_e64 v117, s0, v3, v1, s0
	s_clause 0x1d
	global_load_b128 v[0:3], v[116:117], off offset:2000
	global_load_b128 v[4:7], v[116:117], off offset:4000
	;; [unrolled: 1-line block ×28, first 2 shown]
	global_load_b128 v[112:115], v[116:117], off
	global_load_b128 v[116:119], v[116:117], off offset:58000
	s_wait_loadcnt 0x1d
	ds_store_b128 v120, v[0:3] offset:2000
	s_wait_loadcnt 0x1c
	ds_store_b128 v120, v[4:7] offset:4000
	;; [unrolled: 2-line block ×28, first 2 shown]
	s_wait_loadcnt 0x1
	ds_store_b128 v120, v[112:115]
	s_wait_loadcnt 0x0
	ds_store_b128 v120, v[116:119] offset:58000
.LBB0_13:
	s_or_b32 exec_lo, exec_lo, s1
	v_lshlrev_b32_e32 v125, 4, v124
	global_wb scope:SCOPE_SE
	s_wait_dscnt 0x0
	s_barrier_signal -1
	s_barrier_wait -1
	global_inv scope:SCOPE_SE
	v_add_nc_u32_e32 v180, 0, v125
	s_mov_b32 s0, 0xe8584caa
	s_mov_b32 s1, 0x3febb67a
	;; [unrolled: 1-line block ×3, first 2 shown]
	s_wait_alu 0xfffe
	s_mov_b32 s2, s0
	ds_load_b128 v[16:19], v180
	ds_load_b128 v[8:11], v180 offset:20000
	ds_load_b128 v[20:23], v180 offset:22000
	;; [unrolled: 1-line block ×23, first 2 shown]
	s_wait_dscnt 0x16
	v_add_f64_e32 v[112:113], v[16:17], v[8:9]
	v_add_f64_e32 v[114:115], v[18:19], v[10:11]
	s_wait_dscnt 0x14
	v_add_f64_e32 v[116:117], v[12:13], v[20:21]
	v_add_f64_e32 v[118:119], v[14:15], v[22:23]
	;; [unrolled: 3-line block ×3, first 2 shown]
	s_wait_dscnt 0x10
	v_add_f64_e32 v[136:137], v[4:5], v[28:29]
	s_wait_dscnt 0xf
	v_add_f64_e32 v[138:139], v[8:9], v[32:33]
	v_add_f64_e32 v[140:141], v[6:7], v[30:31]
	v_add_f64_e32 v[142:143], v[10:11], v[34:35]
	ds_load_b128 v[96:99], v180 offset:14000
	ds_load_b128 v[100:103], v180 offset:16000
	s_wait_dscnt 0xd
	v_add_f64_e32 v[144:145], v[44:45], v[48:49]
	v_add_f64_e32 v[146:147], v[46:47], v[50:51]
	s_wait_dscnt 0xc
	v_add_f64_e32 v[156:157], v[20:21], v[52:53]
	v_add_f64_e32 v[160:161], v[22:23], v[54:55]
	ds_load_b128 v[104:107], v180 offset:34000
	ds_load_b128 v[108:111], v180 offset:36000
	s_wait_dscnt 0xa
	v_add_f64_e32 v[148:149], v[60:61], v[68:69]
	v_add_f64_e32 v[150:151], v[62:63], v[70:71]
	s_wait_dscnt 0x9
	v_add_f64_e32 v[166:167], v[64:65], v[72:73]
	v_add_f64_e32 v[168:169], v[66:67], v[74:75]
	v_add_f64_e64 v[152:153], v[10:11], -v[34:35]
	v_add_f64_e64 v[154:155], v[8:9], -v[32:33]
	;; [unrolled: 1-line block ×4, first 2 shown]
	v_add_f64_e32 v[164:165], v[24:25], v[56:57]
	v_add_f64_e32 v[172:173], v[26:27], v[58:59]
	s_wait_dscnt 0x7
	v_add_f64_e32 v[176:177], v[28:29], v[80:81]
	v_add_f64_e64 v[178:179], v[30:31], -v[82:83]
	v_add_f64_e32 v[181:182], v[30:31], v[82:83]
	v_add_f64_e64 v[183:184], v[28:29], -v[80:81]
	ds_load_b128 v[28:31], v180 offset:54000
	v_add_f64_e64 v[170:171], v[26:27], -v[58:59]
	v_add_f64_e64 v[174:175], v[24:25], -v[56:57]
	v_mad_u32_u24 v130, v124, 48, 0
	v_lshlrev_b32_e32 v187, 5, v132
	v_lshl_add_u32 v186, v129, 4, 0
	v_lshl_add_u32 v185, v135, 4, 0
	s_mov_b32 s12, 0x134454ff
	v_add_f64_e32 v[112:113], v[112:113], v[32:33]
	v_add_f64_e32 v[114:115], v[114:115], v[34:35]
	;; [unrolled: 1-line block ×4, first 2 shown]
	s_wait_dscnt 0x7
	v_add_f64_e32 v[116:117], v[50:51], v[86:87]
	v_add_f64_e64 v[118:119], v[48:49], -v[84:85]
	v_add_f64_e32 v[8:9], v[136:137], v[80:81]
	v_fma_f64 v[32:33], v[138:139], -0.5, v[16:17]
	v_add_f64_e32 v[10:11], v[140:141], v[82:83]
	v_fma_f64 v[34:35], v[142:143], -0.5, v[18:19]
	v_add_f64_e32 v[80:81], v[48:49], v[84:85]
	v_add_f64_e64 v[82:83], v[50:51], -v[86:87]
	ds_load_b128 v[48:51], v180 offset:56000
	v_add_f64_e32 v[16:17], v[144:145], v[84:85]
	s_wait_dscnt 0x3
	v_add_f64_e32 v[84:85], v[96:97], v[104:105]
	v_add_f64_e32 v[18:19], v[146:147], v[86:87]
	s_wait_dscnt 0x2
	v_add_f64_e32 v[86:87], v[100:101], v[108:109]
	v_add_f64_e32 v[20:21], v[148:149], v[88:89]
	v_add_f64_e32 v[22:23], v[150:151], v[90:91]
	v_add_f64_e32 v[136:137], v[68:69], v[88:89]
	v_add_f64_e64 v[138:139], v[70:71], -v[90:91]
	v_add_f64_e32 v[90:91], v[70:71], v[90:91]
	v_add_f64_e32 v[140:141], v[36:37], v[76:77]
	;; [unrolled: 1-line block ×6, first 2 shown]
	v_add_f64_e64 v[146:147], v[74:75], -v[94:95]
	v_add_f64_e32 v[74:75], v[74:75], v[94:95]
	v_add_f64_e64 v[92:93], v[72:73], -v[92:93]
	v_fma_f64 v[72:73], v[156:157], -0.5, v[12:13]
	s_wait_dscnt 0x1
	v_add_f64_e32 v[94:95], v[104:105], v[28:29]
	v_add_f64_e32 v[148:149], v[106:107], v[30:31]
	s_wait_dscnt 0x0
	v_add_f64_e32 v[150:151], v[108:109], v[48:49]
	v_fma_f64 v[156:157], v[160:161], -0.5, v[14:15]
	v_add_f64_e32 v[160:161], v[110:111], v[50:51]
	v_add_f64_e32 v[56:57], v[120:121], v[56:57]
	;; [unrolled: 1-line block ×7, first 2 shown]
	v_add_f64_e64 v[88:89], v[68:69], -v[88:89]
	v_fma_f64 v[4:5], v[176:177], -0.5, v[4:5]
	v_fma_f64 v[6:7], v[181:182], -0.5, v[6:7]
	v_fma_f64 v[12:13], v[152:153], s[0:1], v[32:33]
	s_wait_alu 0xfffe
	v_fma_f64 v[68:69], v[152:153], s[2:3], v[32:33]
	v_fma_f64 v[14:15], v[154:155], s[2:3], v[34:35]
	;; [unrolled: 1-line block ×3, first 2 shown]
	v_fma_f64 v[152:153], v[164:165], -0.5, v[0:1]
	v_fma_f64 v[154:155], v[172:173], -0.5, v[2:3]
	v_add_f64_e64 v[106:107], v[106:107], -v[30:31]
	v_add_f64_e32 v[32:33], v[84:85], v[28:29]
	v_add_f64_e64 v[104:105], v[104:105], -v[28:29]
	v_add_f64_e32 v[28:29], v[86:87], v[48:49]
	v_add_f64_e64 v[110:111], v[110:111], -v[50:51]
	v_fma_f64 v[80:81], v[80:81], -0.5, v[44:45]
	v_add_f64_e64 v[108:109], v[108:109], -v[48:49]
	v_fma_f64 v[84:85], v[116:117], -0.5, v[46:47]
	v_fma_f64 v[86:87], v[136:137], -0.5, v[60:61]
	v_add_f64_e32 v[0:1], v[140:141], v[40:41]
	v_fma_f64 v[90:91], v[90:91], -0.5, v[62:63]
	v_add_f64_e32 v[2:3], v[142:143], v[42:43]
	v_add_f64_e64 v[116:117], v[78:79], -v[42:43]
	global_wb scope:SCOPE_SE
	s_barrier_signal -1
	v_fma_f64 v[136:137], v[74:75], -0.5, v[66:67]
	s_barrier_wait -1
	v_fma_f64 v[44:45], v[158:159], s[2:3], v[72:73]
	v_fma_f64 v[94:95], v[94:95], -0.5, v[96:97]
	v_fma_f64 v[98:99], v[148:149], -0.5, v[98:99]
	;; [unrolled: 1-line block ×3, first 2 shown]
	v_fma_f64 v[42:43], v[162:163], s[2:3], v[156:157]
	v_fma_f64 v[142:143], v[160:161], -0.5, v[102:103]
	v_fma_f64 v[46:47], v[162:163], s[0:1], v[156:157]
	global_inv scope:SCOPE_SE
	v_add_f64_e32 v[34:35], v[120:121], v[30:31]
	v_add_f64_e32 v[30:31], v[122:123], v[50:51]
	v_fma_f64 v[120:121], v[144:145], -0.5, v[64:65]
	v_add_f64_e64 v[122:123], v[76:77], -v[40:41]
	v_fma_f64 v[144:145], v[166:167], -0.5, v[36:37]
	v_fma_f64 v[148:149], v[168:169], -0.5, v[38:39]
	v_fma_f64 v[40:41], v[158:159], s[0:1], v[72:73]
	v_fma_f64 v[60:61], v[178:179], s[0:1], v[4:5]
	;; [unrolled: 1-line block ×3, first 2 shown]
	ds_store_b128 v130, v[112:115]
	ds_store_b128 v130, v[12:15] offset:16
	ds_store_b128 v130, v[68:71] offset:32
	v_fma_f64 v[64:65], v[178:179], s[2:3], v[4:5]
	v_fma_f64 v[48:49], v[170:171], s[2:3], v[152:153]
	;; [unrolled: 1-line block ×6, first 2 shown]
	v_mad_i32_i24 v112, v129, 48, 0
	ds_store_b128 v112, v[52:55]
	ds_store_b128 v112, v[40:43] offset:16
	ds_store_b128 v112, v[44:47] offset:32
	v_fma_f64 v[68:69], v[82:83], s[0:1], v[80:81]
	v_fma_f64 v[72:73], v[82:83], s[2:3], v[80:81]
	;; [unrolled: 1-line block ×24, first 2 shown]
	v_mad_i32_i24 v109, v135, 48, 0
	v_mad_i32_i24 v40, v134, 48, 0
	v_and_b32_e32 v108, 0xff, v124
	ds_store_b128 v109, v[56:59]
	ds_store_b128 v109, v[36:39] offset:16
	ds_store_b128 v109, v[48:51] offset:32
	ds_store_b128 v40, v[8:11]
	ds_store_b128 v40, v[60:63] offset:16
	v_mul_lo_u16 v8, 0xab, v108
	v_mad_i32_i24 v36, v133, 48, 0
	v_mad_i32_i24 v182, v132, 48, 0
	;; [unrolled: 1-line block ×3, first 2 shown]
	v_and_b32_e32 v121, 0xff, v129
	v_lshrrev_b16 v137, 9, v8
	v_mad_i32_i24 v181, v131, 48, 0
	ds_store_b128 v40, v[64:67] offset:32
	ds_store_b128 v36, v[16:19]
	ds_store_b128 v36, v[68:71] offset:16
	v_mul_lo_u16 v8, v137, 3
	ds_store_b128 v36, v[72:75] offset:32
	ds_store_b128 v182, v[20:23]
	ds_store_b128 v182, v[76:79] offset:16
	ds_store_b128 v182, v[80:83] offset:32
	ds_store_b128 v181, v[24:27]
	ds_store_b128 v181, v[84:87] offset:16
	ds_store_b128 v181, v[88:91] offset:32
	v_sub_nc_u16 v8, v124, v8
	ds_store_b128 v130, v[32:35] offset:42000
	ds_store_b128 v130, v[92:95] offset:42016
	;; [unrolled: 1-line block ×6, first 2 shown]
	ds_store_b128 v9, v[0:3]
	ds_store_b128 v9, v[12:15] offset:16
	ds_store_b128 v9, v[4:7] offset:32
	v_and_b32_e32 v122, 0xff, v8
	v_mul_lo_u16 v1, 0xab, v121
	global_wb scope:SCOPE_SE
	s_wait_dscnt 0x0
	s_barrier_signal -1
	s_barrier_wait -1
	v_lshlrev_b32_e32 v0, 6, v122
	v_lshrrev_b16 v123, 9, v1
	global_inv scope:SCOPE_SE
	v_and_b32_e32 v120, 0xffff, v135
	v_and_b32_e32 v109, 0xffff, v134
	s_clause 0x1
	global_load_b128 v[16:19], v0, s[4:5]
	global_load_b128 v[12:15], v0, s[4:5] offset:16
	v_mul_lo_u16 v1, v123, 3
	v_mul_u32_u24_e32 v2, 0xaaab, v120
	s_clause 0x1
	global_load_b128 v[36:39], v0, s[4:5] offset:32
	global_load_b128 v[4:7], v0, s[4:5] offset:48
	v_and_b32_e32 v110, 0xffff, v133
	v_sub_nc_u16 v1, v129, v1
	v_lshrrev_b32_e32 v116, 17, v2
	v_and_b32_e32 v111, 0xffff, v132
	v_lshlrev_b32_e32 v130, 5, v131
	v_sub_nc_u32_e32 v188, v182, v187
	v_and_b32_e32 v136, 0xff, v1
	v_mul_lo_u16 v8, v116, 3
	v_mul_u32_u24_e32 v54, 0xaaab, v111
	v_sub_nc_u32_e32 v189, v181, v130
	v_and_b32_e32 v123, 0xffff, v123
	v_lshlrev_b32_e32 v20, 6, v136
	v_sub_nc_u16 v21, v135, v8
	v_lshrrev_b32_e32 v113, 17, v54
	v_lshlrev_b32_e32 v239, 4, v122
	s_mov_b32 s13, 0x3fee6f0e
	s_clause 0x3
	global_load_b128 v[0:3], v20, s[4:5]
	global_load_b128 v[8:11], v20, s[4:5] offset:16
	global_load_b128 v[32:35], v20, s[4:5] offset:32
	;; [unrolled: 1-line block ×3, first 2 shown]
	v_mul_u32_u24_e32 v20, 0xaaab, v109
	v_and_b32_e32 v118, 0xffff, v21
	s_mov_b32 s15, 0xbfee6f0e
	s_mov_b32 s14, s12
	;; [unrolled: 1-line block ×3, first 2 shown]
	v_lshrrev_b32_e32 v117, 17, v20
	v_lshlrev_b32_e32 v40, 6, v118
	s_mov_b32 s7, 0x3fe2cf23
	s_mov_b32 s11, 0xbfe2cf23
	s_wait_alu 0xfffe
	s_mov_b32 s10, s6
	v_mul_lo_u16 v41, v117, 3
	s_clause 0x3
	global_load_b128 v[24:27], v40, s[4:5]
	global_load_b128 v[20:23], v40, s[4:5] offset:16
	global_load_b128 v[48:51], v40, s[4:5] offset:32
	;; [unrolled: 1-line block ×3, first 2 shown]
	v_sub_nc_u16 v41, v134, v41
	v_mul_u32_u24_e32 v40, 0xaaab, v110
	v_lshl_add_u32 v184, v134, 4, 0
	v_lshl_add_u32 v183, v133, 4, 0
	s_mov_b32 s2, 0x372fe950
	v_and_b32_e32 v119, 0xffff, v41
	v_lshrrev_b32_e32 v112, 17, v40
	s_mov_b32 s3, 0x3fd3c6ef
	v_cmp_gt_u32_e64 s0, 0x4b, v124
	s_mov_b32 s16, 0x9b97f4a8
	v_lshlrev_b32_e32 v52, 6, v119
	v_mul_lo_u16 v53, v112, 3
	s_mov_b32 s17, 0x3fe9e377
	s_mov_b32 s1, exec_lo
	s_clause 0x1
	global_load_b128 v[40:43], v52, s[4:5]
	global_load_b128 v[72:75], v52, s[4:5] offset:16
	v_sub_nc_u16 v53, v133, v53
	s_clause 0x1
	global_load_b128 v[76:79], v52, s[4:5] offset:32
	global_load_b128 v[68:71], v52, s[4:5] offset:48
	v_and_b32_e32 v115, 0xffff, v53
	v_mul_lo_u16 v53, v113, 3
	s_delay_alu instid0(VALU_DEP_2) | instskip(NEXT) | instid1(VALU_DEP_2)
	v_lshlrev_b32_e32 v60, 6, v115
	v_sub_nc_u16 v52, v132, v53
	s_clause 0x1
	global_load_b128 v[64:67], v60, s[4:5]
	global_load_b128 v[56:59], v60, s[4:5] offset:16
	v_and_b32_e32 v114, 0xffff, v52
	global_load_b128 v[52:55], v60, s[4:5] offset:32
	v_lshlrev_b32_e32 v92, 6, v114
	s_clause 0x4
	global_load_b128 v[60:63], v60, s[4:5] offset:48
	global_load_b128 v[80:83], v92, s[4:5]
	global_load_b128 v[88:91], v92, s[4:5] offset:16
	global_load_b128 v[84:87], v92, s[4:5] offset:32
	;; [unrolled: 1-line block ×3, first 2 shown]
	ds_load_b128 v[100:103], v189
	ds_load_b128 v[96:99], v180 offset:24000
	ds_load_b128 v[138:141], v180 offset:36000
	;; [unrolled: 1-line block ×3, first 2 shown]
	ds_load_b128 v[104:107], v188
	ds_load_b128 v[146:149], v180 offset:14000
	ds_load_b128 v[150:153], v180 offset:22000
	;; [unrolled: 1-line block ×11, first 2 shown]
	s_wait_loadcnt_dscnt 0x170f
	v_mul_f64_e32 v[178:179], v[102:103], v[18:19]
	v_mul_f64_e32 v[18:19], v[100:101], v[18:19]
	s_wait_loadcnt_dscnt 0x160e
	v_mul_f64_e32 v[202:203], v[98:99], v[14:15]
	v_mul_f64_e32 v[14:15], v[96:97], v[14:15]
	;; [unrolled: 3-line block ×4, first 2 shown]
	s_wait_loadcnt_dscnt 0x130a
	v_mul_f64_e32 v[208:209], v[148:149], v[2:3]
	s_wait_loadcnt_dscnt 0x1208
	v_mul_f64_e32 v[210:211], v[156:157], v[10:11]
	v_mul_f64_e32 v[212:213], v[154:155], v[10:11]
	s_wait_loadcnt_dscnt 0x1106
	v_mul_f64_e32 v[214:215], v[164:165], v[34:35]
	v_mul_f64_e32 v[216:217], v[162:163], v[34:35]
	;; [unrolled: 1-line block ×3, first 2 shown]
	s_wait_loadcnt_dscnt 0x1005
	v_mul_f64_e32 v[218:219], v[168:169], v[30:31]
	s_wait_loadcnt_dscnt 0xf03
	v_mul_f64_e32 v[222:223], v[176:177], v[26:27]
	v_mul_f64_e32 v[26:27], v[174:175], v[26:27]
	v_fma_f64 v[178:179], v[100:101], v[16:17], -v[178:179]
	v_fma_f64 v[220:221], v[102:103], v[16:17], v[18:19]
	v_fma_f64 v[202:203], v[96:97], v[12:13], -v[202:203]
	v_fma_f64 v[224:225], v[98:99], v[12:13], v[14:15]
	ds_load_b128 v[10:13], v180 offset:18000
	ds_load_b128 v[14:17], v180 offset:30000
	v_mul_f64_e32 v[18:19], v[166:167], v[30:31]
	s_wait_loadcnt_dscnt 0xe04
	v_mul_f64_e32 v[226:227], v[192:193], v[22:23]
	v_fma_f64 v[228:229], v[140:141], v[36:37], v[38:39]
	v_mul_f64_e32 v[22:23], v[190:191], v[22:23]
	s_wait_loadcnt_dscnt 0xd03
	v_mul_f64_e32 v[38:39], v[196:197], v[50:51]
	v_mul_f64_e32 v[50:51], v[194:195], v[50:51]
	v_and_b32_e32 v30, 0xffff, v137
	v_fma_f64 v[204:205], v[138:139], v[36:37], -v[204:205]
	v_fma_f64 v[206:207], v[142:143], v[4:5], -v[206:207]
	v_fma_f64 v[230:231], v[144:145], v[4:5], v[6:7]
	ds_load_b128 v[4:7], v180 offset:42000
	s_wait_loadcnt_dscnt 0xc03
	v_mul_f64_e32 v[232:233], v[200:201], v[46:47]
	v_mul_f64_e32 v[46:47], v[198:199], v[46:47]
	v_mul_u32_u24_e32 v238, 0xf0, v30
	ds_load_b128 v[34:37], v180 offset:54000
	ds_load_b128 v[96:99], v180 offset:20000
	;; [unrolled: 1-line block ×4, first 2 shown]
	v_fma_f64 v[208:209], v[146:147], v[0:1], -v[208:209]
	s_wait_loadcnt_dscnt 0xb06
	v_mul_f64_e32 v[236:237], v[12:13], v[42:43]
	v_fma_f64 v[154:155], v[154:155], v[8:9], -v[210:211]
	v_fma_f64 v[156:157], v[156:157], v[8:9], v[212:213]
	v_mul_f64_e32 v[8:9], v[10:11], v[42:43]
	s_wait_loadcnt_dscnt 0xa05
	v_mul_f64_e32 v[42:43], v[16:17], v[74:75]
	v_mul_f64_e32 v[74:75], v[14:15], v[74:75]
	v_fma_f64 v[162:163], v[162:163], v[32:33], -v[214:215]
	v_fma_f64 v[164:165], v[164:165], v[32:33], v[216:217]
	ds_load_b128 v[30:33], v180 offset:44000
	v_fma_f64 v[234:235], v[148:149], v[0:1], v[2:3]
	v_fma_f64 v[166:167], v[166:167], v[28:29], -v[218:219]
	v_mul_u32_u24_e32 v149, 0xf0, v123
	ds_load_b128 v[141:144], v180
	ds_load_b128 v[145:148], v180 offset:58000
	v_fma_f64 v[122:123], v[176:177], v[24:25], v[26:27]
	v_add3_u32 v27, 0, v238, v239
	s_wait_loadcnt_dscnt 0x604
	v_mul_f64_e32 v[210:211], v[102:103], v[58:59]
	v_fma_f64 v[168:169], v[168:169], v[28:29], v[18:19]
	v_mul_f64_e32 v[18:19], v[6:7], v[78:79]
	v_mul_f64_e32 v[28:29], v[4:5], v[78:79]
	v_fma_f64 v[78:79], v[174:175], v[24:25], -v[222:223]
	v_mul_f64_e32 v[174:175], v[36:37], v[70:71]
	v_fma_f64 v[176:177], v[190:191], v[20:21], -v[226:227]
	v_fma_f64 v[190:191], v[192:193], v[20:21], v[22:23]
	v_mul_f64_e32 v[70:71], v[34:35], v[70:71]
	v_fma_f64 v[20:21], v[196:197], v[48:49], v[50:51]
	v_mul_f64_e32 v[50:51], v[100:101], v[58:59]
	s_wait_loadcnt_dscnt 0x502
	v_mul_f64_e32 v[58:59], v[32:33], v[54:55]
	v_mul_f64_e32 v[54:55], v[30:31], v[54:55]
	;; [unrolled: 1-line block ×4, first 2 shown]
	s_wait_loadcnt 0x4
	v_mul_f64_e32 v[196:197], v[139:140], v[62:63]
	v_fma_f64 v[0:1], v[198:199], v[44:45], -v[232:233]
	v_fma_f64 v[2:3], v[200:201], v[44:45], v[46:47]
	v_mul_f64_e32 v[62:63], v[137:138], v[62:63]
	s_wait_loadcnt 0x3
	v_mul_f64_e32 v[198:199], v[152:153], v[82:83]
	v_mul_f64_e32 v[82:83], v[150:151], v[82:83]
	s_wait_loadcnt 0x2
	v_mul_f64_e32 v[200:201], v[160:161], v[90:91]
	v_fma_f64 v[214:215], v[12:13], v[40:41], v[8:9]
	v_mul_f64_e32 v[12:13], v[158:159], v[90:91]
	v_add_f64_e32 v[90:91], v[178:179], v[206:207]
	s_wait_loadcnt 0x1
	v_mul_f64_e32 v[216:217], v[172:173], v[86:87]
	v_fma_f64 v[218:219], v[14:15], v[72:73], -v[42:43]
	v_add_f64_e32 v[14:15], v[220:221], v[230:231]
	v_fma_f64 v[72:73], v[16:17], v[72:73], v[74:75]
	v_mul_f64_e32 v[16:17], v[170:171], v[86:87]
	v_add_f64_e32 v[74:75], v[202:203], v[204:205]
	v_add_f64_e32 v[222:223], v[224:225], v[228:229]
	v_fma_f64 v[194:195], v[194:195], v[48:49], -v[38:39]
	v_fma_f64 v[212:213], v[10:11], v[40:41], -v[236:237]
	ds_load_b128 v[38:41], v186
	s_wait_loadcnt_dscnt 0x1
	v_mul_f64_e32 v[86:87], v[147:148], v[94:95]
	v_fma_f64 v[22:23], v[4:5], v[76:77], -v[18:19]
	v_lshlrev_b32_e32 v4, 4, v136
	v_fma_f64 v[24:25], v[6:7], v[76:77], v[28:29]
	v_mul_f64_e32 v[28:29], v[145:146], v[94:95]
	v_add_f64_e32 v[76:77], v[141:142], v[178:179]
	v_add_f64_e32 v[94:95], v[143:144], v[220:221]
	v_add3_u32 v26, 0, v149, v4
	v_fma_f64 v[4:5], v[34:35], v[68:69], -v[174:175]
	v_fma_f64 v[6:7], v[36:37], v[68:69], v[70:71]
	ds_load_b128 v[34:37], v185
	v_fma_f64 v[58:59], v[30:31], v[52:53], -v[58:59]
	v_fma_f64 v[52:53], v[32:33], v[52:53], v[54:55]
	v_fma_f64 v[68:69], v[96:97], v[64:65], -v[192:193]
	v_fma_f64 v[64:65], v[98:99], v[64:65], v[66:67]
	s_wait_dscnt 0x1
	v_add_f64_e32 v[30:31], v[38:39], v[208:209]
	v_add_f64_e32 v[32:33], v[40:41], v[234:235]
	v_fma_f64 v[66:67], v[100:101], v[56:57], -v[210:211]
	v_fma_f64 v[56:57], v[102:103], v[56:57], v[50:51]
	v_fma_f64 v[8:9], v[137:138], v[60:61], -v[196:197]
	v_fma_f64 v[10:11], v[139:140], v[60:61], v[62:63]
	;; [unrolled: 2-line block ×3, first 2 shown]
	v_fma_f64 v[62:63], v[158:159], v[88:89], -v[200:201]
	v_add_f64_e64 v[50:51], v[224:225], -v[228:229]
	v_fma_f64 v[70:71], v[90:91], -0.5, v[141:142]
	v_fma_f64 v[80:81], v[160:161], v[88:89], v[12:13]
	v_add_f64_e64 v[82:83], v[202:203], -v[204:205]
	v_fma_f64 v[88:89], v[14:15], -0.5, v[143:144]
	v_fma_f64 v[18:19], v[170:171], v[84:85], -v[216:217]
	v_add_f64_e64 v[90:91], v[220:221], -v[230:231]
	v_fma_f64 v[74:75], v[74:75], -0.5, v[141:142]
	v_fma_f64 v[16:17], v[172:173], v[84:85], v[16:17]
	v_add_f64_e64 v[84:85], v[178:179], -v[206:207]
	v_fma_f64 v[96:97], v[222:223], -0.5, v[143:144]
	v_fma_f64 v[12:13], v[145:146], v[92:93], -v[86:87]
	v_add_f64_e64 v[100:101], v[202:203], -v[178:179]
	v_add_f64_e64 v[102:103], v[204:205], -v[206:207]
	;; [unrolled: 1-line block ×4, first 2 shown]
	v_add_f64_e32 v[136:137], v[154:155], v[162:163]
	v_add_f64_e32 v[138:139], v[156:157], v[164:165]
	v_fma_f64 v[14:15], v[147:148], v[92:93], v[28:29]
	v_add_f64_e64 v[28:29], v[178:179], -v[202:203]
	v_add_f64_e64 v[92:93], v[220:221], -v[224:225]
	v_add_f64_e32 v[76:77], v[76:77], v[202:203]
	v_add_f64_e32 v[94:95], v[94:95], v[224:225]
	;; [unrolled: 1-line block ×4, first 2 shown]
	v_add_f64_e64 v[144:145], v[224:225], -v[220:221]
	v_add_f64_e64 v[146:147], v[228:229], -v[230:231]
	;; [unrolled: 1-line block ×4, first 2 shown]
	v_add_f64_e32 v[30:31], v[30:31], v[154:155]
	v_add_f64_e32 v[32:33], v[32:33], v[156:157]
	v_add_f64_e64 v[198:199], v[208:209], -v[166:167]
	v_add_f64_e64 v[150:151], v[162:163], -v[166:167]
	v_add_f64_e64 v[158:159], v[164:165], -v[168:169]
	v_add_f64_e64 v[160:161], v[156:157], -v[164:165]
	v_add_f64_e64 v[170:171], v[154:155], -v[162:163]
	v_add_f64_e64 v[154:155], v[166:167], -v[162:163]
	v_add_f64_e64 v[192:193], v[168:169], -v[164:165]
	v_add_f64_e32 v[202:203], v[176:177], v[194:195]
	v_fma_f64 v[178:179], v[50:51], s[14:15], v[70:71]
	v_fma_f64 v[70:71], v[50:51], s[12:13], v[70:71]
	v_add_f64_e32 v[216:217], v[78:79], v[0:1]
	v_fma_f64 v[196:197], v[82:83], s[12:13], v[88:89]
	v_fma_f64 v[88:89], v[82:83], s[14:15], v[88:89]
	v_add_f64_e64 v[152:153], v[156:157], -v[234:235]
	v_fma_f64 v[200:201], v[90:91], s[12:13], v[74:75]
	v_fma_f64 v[74:75], v[90:91], s[14:15], v[74:75]
	v_add_f64_e32 v[210:211], v[190:191], v[20:21]
	v_fma_f64 v[208:209], v[84:85], s[14:15], v[96:97]
	v_fma_f64 v[96:97], v[84:85], s[12:13], v[96:97]
	v_add_f64_e32 v[232:233], v[54:55], v[12:13]
	v_add_f64_e32 v[100:101], v[100:101], v[102:103]
	;; [unrolled: 1-line block ×7, first 2 shown]
	v_fma_f64 v[136:137], v[136:137], -0.5, v[38:39]
	v_fma_f64 v[138:139], v[138:139], -0.5, v[40:41]
	v_add_f64_e32 v[76:77], v[76:77], v[204:205]
	v_add_f64_e32 v[204:205], v[212:213], v[4:5]
	;; [unrolled: 1-line block ×3, first 2 shown]
	v_fma_f64 v[140:141], v[140:141], -0.5, v[38:39]
	v_fma_f64 v[142:143], v[142:143], -0.5, v[40:41]
	v_add_f64_e32 v[38:39], v[66:67], v[58:59]
	v_add_f64_e32 v[40:41], v[56:57], v[52:53]
	;; [unrolled: 1-line block ×10, first 2 shown]
	ds_load_b128 v[42:45], v184
	ds_load_b128 v[46:49], v183
	v_add_f64_e32 v[244:245], v[104:105], v[54:55]
	s_wait_dscnt 0x2
	v_fma_f64 v[202:203], v[202:203], -0.5, v[34:35]
	v_fma_f64 v[178:179], v[90:91], s[6:7], v[178:179]
	v_fma_f64 v[70:71], v[90:91], s[10:11], v[70:71]
	v_add_f64_e64 v[90:91], v[78:79], -v[176:177]
	v_fma_f64 v[196:197], v[84:85], s[10:11], v[196:197]
	v_fma_f64 v[84:85], v[84:85], s[6:7], v[88:89]
	v_add_f64_e64 v[88:89], v[0:1], -v[194:195]
	v_fma_f64 v[200:201], v[50:51], s[6:7], v[200:201]
	v_fma_f64 v[50:51], v[50:51], s[10:11], v[74:75]
	v_fma_f64 v[216:217], v[216:217], -0.5, v[34:35]
	v_fma_f64 v[208:209], v[82:83], s[10:11], v[208:209]
	v_fma_f64 v[82:83], v[82:83], s[6:7], v[96:97]
	v_add_f64_e32 v[96:97], v[34:35], v[78:79]
	v_add_f64_e64 v[174:175], v[234:235], -v[156:157]
	v_fma_f64 v[102:103], v[102:103], -0.5, v[104:105]
	v_fma_f64 v[104:105], v[232:233], -0.5, v[104:105]
	v_add_f64_e64 v[156:157], v[234:235], -v[168:169]
	v_fma_f64 v[210:211], v[210:211], -0.5, v[36:37]
	v_fma_f64 v[220:221], v[220:221], -0.5, v[36:37]
	v_add_f64_e32 v[234:235], v[36:37], v[122:123]
	s_wait_dscnt 0x0
	v_add_f64_e32 v[242:243], v[48:49], v[64:65]
	v_add_f64_e32 v[28:29], v[76:77], v[206:207]
	v_fma_f64 v[206:207], v[222:223], -0.5, v[42:43]
	v_add_f64_e32 v[30:31], v[94:95], v[230:231]
	v_add_f64_e32 v[94:95], v[42:43], v[212:213]
	v_fma_f64 v[222:223], v[224:225], -0.5, v[44:45]
	v_fma_f64 v[204:205], v[204:205], -0.5, v[42:43]
	;; [unrolled: 1-line block ×3, first 2 shown]
	v_add_f64_e32 v[226:227], v[44:45], v[214:215]
	v_add_f64_e32 v[230:231], v[46:47], v[68:69]
	;; [unrolled: 1-line block ×3, first 2 shown]
	v_fma_f64 v[232:233], v[32:33], -0.5, v[106:107]
	v_add_f64_e32 v[32:33], v[162:163], v[166:167]
	v_add_f64_e64 v[162:163], v[190:191], -v[122:123]
	v_add_f64_e64 v[164:165], v[20:21], -v[2:3]
	v_fma_f64 v[238:239], v[38:39], -0.5, v[46:47]
	v_fma_f64 v[240:241], v[40:41], -0.5, v[48:49]
	;; [unrolled: 1-line block ×4, first 2 shown]
	s_wait_alu 0xfffe
	v_fma_f64 v[36:37], v[100:101], s[2:3], v[178:179]
	v_fma_f64 v[40:41], v[100:101], s[2:3], v[70:71]
	v_add_f64_e64 v[70:71], v[212:213], -v[218:219]
	v_fma_f64 v[38:39], v[144:145], s[2:3], v[196:197]
	v_fma_f64 v[42:43], v[144:145], s[2:3], v[84:85]
	v_add_f64_e64 v[84:85], v[4:5], -v[22:23]
	;; [unrolled: 3-line block ×4, first 2 shown]
	v_add_f64_e32 v[92:93], v[148:149], v[150:151]
	v_add_f64_e64 v[100:101], v[218:219], -v[212:213]
	v_add_f64_e32 v[144:145], v[152:153], v[158:159]
	v_add_f64_e64 v[148:149], v[22:23], -v[4:5]
	v_add_f64_e64 v[152:153], v[72:73], -v[214:215]
	v_add_f64_e64 v[158:159], v[24:25], -v[6:7]
	v_add_f64_e32 v[88:89], v[90:91], v[88:89]
	v_add_f64_e64 v[90:91], v[68:69], -v[66:67]
	v_add_f64_e64 v[166:167], v[8:9], -v[58:59]
	;; [unrolled: 4-line block ×3, first 2 shown]
	v_add_f64_e32 v[150:151], v[172:173], v[154:155]
	v_add_f64_e32 v[154:155], v[174:175], v[192:193]
	;; [unrolled: 1-line block ×3, first 2 shown]
	v_add_f64_e64 v[122:123], v[122:123], -v[2:3]
	v_fma_f64 v[174:175], v[156:157], s[12:13], v[136:137]
	v_fma_f64 v[136:137], v[156:157], s[14:15], v[136:137]
	v_add_f64_e64 v[78:79], v[78:79], -v[0:1]
	v_add_f64_e64 v[236:237], v[2:3], -v[20:21]
	v_add_f64_e32 v[162:163], v[162:163], v[164:165]
	v_add_f64_e64 v[164:165], v[10:11], -v[52:53]
	v_add_f64_e64 v[246:247], v[194:195], -v[0:1]
	;; [unrolled: 1-line block ×3, first 2 shown]
	v_add_f64_e32 v[176:177], v[234:235], v[190:191]
	v_add_f64_e64 v[178:179], v[190:191], -v[20:21]
	v_add_f64_e32 v[196:197], v[226:227], v[72:73]
	v_add_f64_e32 v[208:209], v[242:243], v[56:57]
	v_add_f64_e64 v[72:73], v[72:73], -v[24:25]
	v_add_f64_e32 v[94:95], v[94:95], v[218:219]
	;; [unrolled: 3-line block ×3, first 2 shown]
	v_add_f64_e64 v[234:235], v[54:55], -v[12:13]
	v_add_f64_e32 v[226:227], v[244:245], v[62:63]
	v_add_f64_e64 v[230:231], v[62:63], -v[54:55]
	v_add_f64_e32 v[82:83], v[82:83], v[86:87]
	v_add_f64_e64 v[86:87], v[58:59], -v[8:9]
	global_wb scope:SCOPE_SE
	s_barrier_signal -1
	v_add_f64_e32 v[100:101], v[100:101], v[148:149]
	v_add_f64_e64 v[148:149], v[56:57], -v[64:65]
	v_add_f64_e32 v[152:153], v[152:153], v[158:159]
	v_add_f64_e64 v[158:159], v[52:53], -v[10:11]
	s_barrier_wait -1
	v_add_f64_e32 v[90:91], v[90:91], v[166:167]
	v_add_f64_e64 v[166:167], v[54:55], -v[62:63]
	v_fma_f64 v[146:147], v[146:147], -0.5, v[106:107]
	v_add_f64_e32 v[106:107], v[106:107], v[60:61]
	global_inv scope:SCOPE_SE
	ds_store_b128 v27, v[28:31]
	ds_store_b128 v27, v[44:47] offset:48
	ds_store_b128 v27, v[36:39] offset:96
	;; [unrolled: 1-line block ×4, first 2 shown]
	v_add_f64_e32 v[96:97], v[96:97], v[194:195]
	v_fma_f64 v[190:191], v[122:123], s[12:13], v[202:203]
	v_fma_f64 v[174:175], v[160:161], s[6:7], v[174:175]
	;; [unrolled: 1-line block ×5, first 2 shown]
	v_add_f64_e64 v[202:203], v[212:213], -v[4:5]
	v_add_f64_e32 v[164:165], v[168:169], v[164:165]
	v_add_f64_e64 v[168:169], v[12:13], -v[18:19]
	v_add_f64_e64 v[212:213], v[66:67], -v[58:59]
	v_add_f64_e32 v[74:75], v[74:75], v[236:237]
	v_add_f64_e32 v[176:177], v[176:177], v[20:21]
	;; [unrolled: 1-line block ×4, first 2 shown]
	v_add_f64_e64 v[236:237], v[18:19], -v[12:13]
	v_add_f64_e32 v[94:95], v[94:95], v[22:23]
	v_add_f64_e32 v[76:77], v[76:77], v[246:247]
	;; [unrolled: 1-line block ×4, first 2 shown]
	v_add_f64_e64 v[70:71], v[60:61], -v[80:81]
	v_add_f64_e32 v[148:149], v[148:149], v[158:159]
	v_add_f64_e64 v[158:159], v[14:15], -v[16:17]
	v_add_f64_e32 v[106:107], v[106:107], v[80:81]
	v_add_f64_e32 v[0:1], v[96:97], v[0:1]
	v_fma_f64 v[192:193], v[178:179], s[10:11], v[192:193]
	v_fma_f64 v[194:195], v[172:173], s[6:7], v[194:195]
	;; [unrolled: 1-line block ×4, first 2 shown]
	v_add_f64_e32 v[166:167], v[166:167], v[168:169]
	v_fma_f64 v[168:169], v[160:161], s[14:15], v[140:141]
	v_fma_f64 v[140:141], v[160:161], s[12:13], v[140:141]
	;; [unrolled: 1-line block ×3, first 2 shown]
	v_add_f64_e64 v[210:211], v[218:219], -v[22:23]
	v_add_f64_e64 v[218:219], v[64:65], -v[10:11]
	v_add_f64_e32 v[2:3], v[176:177], v[2:3]
	v_add_f64_e32 v[4:5], v[94:95], v[4:5]
	;; [unrolled: 1-line block ×4, first 2 shown]
	v_fma_f64 v[70:71], v[170:171], s[12:13], v[142:143]
	v_fma_f64 v[142:143], v[170:171], s[14:15], v[142:143]
	v_add_f64_e32 v[106:107], v[106:107], v[16:17]
	v_fma_f64 v[168:169], v[156:157], s[6:7], v[168:169]
	v_fma_f64 v[140:141], v[156:157], s[10:11], v[140:141]
	v_fma_f64 v[156:157], v[198:199], s[14:15], v[138:139]
	v_fma_f64 v[138:139], v[198:199], s[12:13], v[138:139]
	v_fma_f64 v[160:161], v[172:173], s[10:11], v[160:161]
	v_fma_f64 v[70:71], v[198:199], s[10:11], v[70:71]
	v_fma_f64 v[142:143], v[198:199], s[6:7], v[142:143]
	v_add_f64_e64 v[198:199], v[214:215], -v[6:7]
	v_add_f64_e64 v[214:215], v[56:57], -v[52:53]
	v_fma_f64 v[56:57], v[150:151], s[2:3], v[174:175]
	v_add_f64_e32 v[6:7], v[24:25], v[6:7]
	v_mul_u32_u24_e32 v24, 0xf0, v116
	v_lshlrev_b32_e32 v25, 4, v118
	s_delay_alu instid0(VALU_DEP_1)
	v_add3_u32 v24, 0, v24, v25
	v_fma_f64 v[20:21], v[92:93], s[2:3], v[168:169]
	v_fma_f64 v[168:169], v[72:73], s[14:15], v[204:205]
	;; [unrolled: 1-line block ×3, first 2 shown]
	v_add_f64_e64 v[156:157], v[68:69], -v[8:9]
	v_fma_f64 v[66:67], v[170:171], s[6:7], v[138:139]
	v_add_f64_e64 v[170:171], v[80:81], -v[60:61]
	v_add_f64_e64 v[80:81], v[80:81], -v[16:17]
	v_fma_f64 v[68:69], v[178:179], s[6:7], v[190:191]
	v_fma_f64 v[190:191], v[178:179], s[14:15], v[216:217]
	;; [unrolled: 1-line block ×5, first 2 shown]
	v_add_f64_e64 v[220:221], v[62:63], -v[18:19]
	v_add_f64_e64 v[138:139], v[60:61], -v[14:15]
	v_fma_f64 v[52:53], v[92:93], s[2:3], v[140:141]
	v_fma_f64 v[92:93], v[210:211], s[12:13], v[224:225]
	;; [unrolled: 1-line block ×5, first 2 shown]
	v_add_f64_e32 v[8:9], v[200:201], v[8:9]
	v_fma_f64 v[22:23], v[144:145], s[2:3], v[70:71]
	v_fma_f64 v[54:55], v[144:145], s[2:3], v[142:143]
	;; [unrolled: 1-line block ×9, first 2 shown]
	v_add_f64_e64 v[194:195], v[16:17], -v[14:15]
	v_add_f64_e32 v[14:15], v[106:107], v[14:15]
	v_fma_f64 v[168:169], v[198:199], s[6:7], v[168:169]
	v_fma_f64 v[58:59], v[154:155], s[2:3], v[64:65]
	ds_store_b128 v26, v[32:35]
	ds_store_b128 v26, v[56:59] offset:48
	v_fma_f64 v[62:63], v[154:155], s[2:3], v[66:67]
	v_fma_f64 v[154:155], v[156:157], s[14:15], v[240:241]
	;; [unrolled: 1-line block ×31, first 2 shown]
	v_add_f64_e32 v[150:151], v[226:227], v[18:19]
	v_add_f64_e32 v[170:171], v[170:171], v[194:195]
	v_fma_f64 v[39:40], v[100:101], s[2:3], v[168:169]
	ds_store_b128 v26, v[20:23] offset:96
	ds_store_b128 v26, v[52:55] offset:144
	;; [unrolled: 1-line block ×3, first 2 shown]
	v_mul_u32_u24_e32 v20, 0xf0, v117
	v_lshlrev_b32_e32 v21, 4, v119
	v_fma_f64 v[49:50], v[212:213], s[10:11], v[154:155]
	v_mul_u32_u24_e32 v62, 0x8889, v111
	v_fma_f64 v[142:143], v[212:213], s[6:7], v[160:161]
	v_fma_f64 v[74:75], v[156:157], s[10:11], v[74:75]
	;; [unrolled: 1-line block ×3, first 2 shown]
	v_add_f64_e32 v[156:157], v[230:231], v[236:237]
	v_fma_f64 v[16:17], v[76:77], s[2:3], v[174:175]
	v_fma_f64 v[18:19], v[162:163], s[2:3], v[190:191]
	;; [unrolled: 1-line block ×22, first 2 shown]
	v_add_f64_e32 v[12:13], v[150:151], v[12:13]
	v_fma_f64 v[76:77], v[86:87], s[2:3], v[144:145]
	ds_store_b128 v24, v[0:3]
	ds_store_b128 v24, v[64:67] offset:48
	ds_store_b128 v24, v[16:19] offset:96
	;; [unrolled: 1-line block ×3, first 2 shown]
	v_fma_f64 v[49:50], v[164:165], s[2:3], v[49:50]
	v_fma_f64 v[74:75], v[148:149], s[2:3], v[74:75]
	;; [unrolled: 1-line block ×12, first 2 shown]
	v_mul_lo_u16 v1, 0x89, v108
	v_mul_u32_u24_e32 v2, 0xf0, v112
	v_lshlrev_b32_e32 v3, 4, v115
	v_add3_u32 v0, 0, v20, v21
	ds_store_b128 v24, v[68:71] offset:192
	v_lshrrev_b16 v140, 11, v1
	ds_store_b128 v0, v[4:7]
	ds_store_b128 v0, v[31:34] offset:48
	v_add3_u32 v1, 0, v2, v3
	v_mul_lo_u16 v3, v140, 15
	ds_store_b128 v0, v[39:42] offset:96
	ds_store_b128 v0, v[43:46] offset:144
	ds_store_b128 v0, v[35:38] offset:192
	ds_store_b128 v1, v[8:11]
	ds_store_b128 v1, v[47:50] offset:48
	v_sub_nc_u16 v0, v124, v3
	v_mul_u32_u24_e32 v2, 0xf0, v113
	v_lshlrev_b32_e32 v4, 4, v114
	ds_store_b128 v1, v[72:75] offset:96
	ds_store_b128 v1, v[76:79] offset:144
	ds_store_b128 v1, v[56:59] offset:192
	v_and_b32_e32 v141, 0xff, v0
	v_add3_u32 v2, 0, v2, v4
	v_mul_lo_u16 v0, 0x89, v121
	ds_store_b128 v2, v[12:15]
	ds_store_b128 v2, v[80:83] offset:48
	v_lshlrev_b32_e32 v8, 6, v141
	ds_store_b128 v2, v[88:91] offset:96
	ds_store_b128 v2, v[92:95] offset:144
	;; [unrolled: 1-line block ×3, first 2 shown]
	global_wb scope:SCOPE_SE
	s_wait_dscnt 0x0
	v_lshrrev_b16 v143, 11, v0
	s_barrier_signal -1
	s_barrier_wait -1
	global_inv scope:SCOPE_SE
	s_clause 0x2
	global_load_b128 v[0:3], v8, s[4:5] offset:192
	global_load_b128 v[20:23], v8, s[4:5] offset:208
	;; [unrolled: 1-line block ×3, first 2 shown]
	v_mul_u32_u24_e32 v10, 0x8889, v120
	v_mul_lo_u16 v9, v143, 15
	v_mul_u32_u24_e32 v48, 0x8889, v110
	v_lshrrev_b32_e32 v122, 19, v62
	s_delay_alu instid0(VALU_DEP_4) | instskip(NEXT) | instid1(VALU_DEP_4)
	v_lshrrev_b32_e32 v136, 19, v10
	v_sub_nc_u16 v9, v129, v9
	s_delay_alu instid0(VALU_DEP_4) | instskip(NEXT) | instid1(VALU_DEP_3)
	v_lshrrev_b32_e32 v142, 19, v48
	v_mul_lo_u16 v12, v136, 15
	s_delay_alu instid0(VALU_DEP_3) | instskip(NEXT) | instid1(VALU_DEP_3)
	v_and_b32_e32 v145, 0xff, v9
	v_mul_lo_u16 v61, v142, 15
	s_delay_alu instid0(VALU_DEP_3) | instskip(NEXT) | instid1(VALU_DEP_3)
	v_sub_nc_u16 v25, v135, v12
	v_lshlrev_b32_e32 v24, 6, v145
	s_delay_alu instid0(VALU_DEP_3) | instskip(NEXT) | instid1(VALU_DEP_3)
	v_sub_nc_u16 v61, v133, v61
	v_and_b32_e32 v137, 0xffff, v25
	s_clause 0x4
	global_load_b128 v[12:15], v24, s[4:5] offset:208
	global_load_b128 v[8:11], v8, s[4:5] offset:224
	;; [unrolled: 1-line block ×5, first 2 shown]
	v_lshlrev_b32_e32 v26, 6, v137
	s_clause 0x1
	global_load_b128 v[40:43], v26, s[4:5] offset:192
	global_load_b128 v[28:31], v26, s[4:5] offset:208
	v_mul_u32_u24_e32 v25, 0x8889, v109
	global_load_b128 v[32:35], v26, s[4:5] offset:224
	v_and_b32_e32 v144, 0xffff, v61
	v_lshrrev_b32_e32 v138, 19, v25
	s_delay_alu instid0(VALU_DEP_2) | instskip(NEXT) | instid1(VALU_DEP_2)
	v_lshlrev_b32_e32 v64, 6, v144
	v_mul_lo_u16 v24, v138, 15
	s_delay_alu instid0(VALU_DEP_1) | instskip(NEXT) | instid1(VALU_DEP_1)
	v_sub_nc_u16 v24, v134, v24
	v_and_b32_e32 v139, 0xffff, v24
	s_delay_alu instid0(VALU_DEP_1)
	v_lshlrev_b32_e32 v60, 6, v139
	s_clause 0x4
	global_load_b128 v[56:59], v60, s[4:5] offset:192
	global_load_b128 v[24:27], v26, s[4:5] offset:240
	;; [unrolled: 1-line block ×5, first 2 shown]
	v_mul_lo_u16 v60, v122, 15
	s_delay_alu instid0(VALU_DEP_1)
	v_sub_nc_u16 v65, v132, v60
	s_clause 0x2
	global_load_b128 v[84:87], v64, s[4:5] offset:192
	global_load_b128 v[60:63], v64, s[4:5] offset:208
	global_load_b128 v[68:71], v64, s[4:5] offset:224
	v_and_b32_e32 v123, 0xffff, v65
	s_delay_alu instid0(VALU_DEP_1)
	v_lshlrev_b32_e32 v88, 6, v123
	s_clause 0x4
	global_load_b128 v[64:67], v64, s[4:5] offset:240
	global_load_b128 v[72:75], v88, s[4:5] offset:192
	;; [unrolled: 1-line block ×5, first 2 shown]
	ds_load_b128 v[108:111], v189
	ds_load_b128 v[112:115], v180 offset:48000
	ds_load_b128 v[104:107], v180 offset:24000
	;; [unrolled: 1-line block ×4, first 2 shown]
	ds_load_b128 v[116:119], v188
	ds_load_b128 v[146:149], v180 offset:26000
	ds_load_b128 v[150:153], v180 offset:46000
	;; [unrolled: 1-line block ×10, first 2 shown]
	s_wait_loadcnt_dscnt 0x170f
	v_mul_f64_e32 v[178:179], v[110:111], v[2:3]
	v_mul_f64_e32 v[2:3], v[108:109], v[2:3]
	s_wait_loadcnt_dscnt 0x150e
	v_mul_f64_e32 v[198:199], v[114:115], v[6:7]
	v_mul_f64_e32 v[6:7], v[112:113], v[6:7]
	s_wait_dscnt 0xd
	v_mul_f64_e32 v[200:201], v[106:107], v[22:23]
	v_mul_f64_e32 v[22:23], v[104:105], v[22:23]
	s_wait_loadcnt_dscnt 0x1409
	v_mul_f64_e32 v[208:209], v[148:149], v[14:15]
	s_wait_loadcnt 0x13
	v_mul_f64_e32 v[202:203], v[102:103], v[10:11]
	v_mul_f64_e32 v[10:11], v[100:101], v[10:11]
	s_wait_loadcnt 0x12
	v_mul_f64_e32 v[204:205], v[98:99], v[18:19]
	v_mul_f64_e32 v[206:207], v[96:97], v[18:19]
	;; [unrolled: 1-line block ×3, first 2 shown]
	s_wait_loadcnt_dscnt 0x1005
	v_mul_f64_e32 v[214:215], v[164:165], v[38:39]
	v_mul_f64_e32 v[38:39], v[162:163], v[38:39]
	;; [unrolled: 1-line block ×4, first 2 shown]
	s_wait_loadcnt_dscnt 0xf04
	v_mul_f64_e32 v[216:217], v[168:169], v[42:43]
	v_fma_f64 v[178:179], v[108:109], v[0:1], -v[178:179]
	v_fma_f64 v[218:219], v[110:111], v[0:1], v[2:3]
	v_mul_f64_e32 v[0:1], v[166:167], v[42:43]
	v_fma_f64 v[198:199], v[112:113], v[4:5], -v[198:199]
	v_fma_f64 v[220:221], v[114:115], v[4:5], v[6:7]
	ds_load_b128 v[4:7], v180 offset:30000
	s_wait_loadcnt_dscnt 0xe03
	v_mul_f64_e32 v[2:3], v[176:177], v[30:31]
	ds_load_b128 v[108:111], v180 offset:18000
	v_fma_f64 v[200:201], v[104:105], v[20:21], -v[200:201]
	v_fma_f64 v[222:223], v[106:107], v[20:21], v[22:23]
	ds_load_b128 v[18:21], v180 offset:42000
	v_mul_f64_e32 v[30:31], v[174:175], v[30:31]
	s_wait_loadcnt_dscnt 0xd04
	v_mul_f64_e32 v[42:43], v[192:193], v[34:35]
	v_mul_f64_e32 v[22:23], v[190:191], v[34:35]
	ds_load_b128 v[104:107], v180 offset:56000
	v_fma_f64 v[208:209], v[146:147], v[12:13], -v[208:209]
	v_fma_f64 v[202:203], v[100:101], v[8:9], -v[202:203]
	v_fma_f64 v[226:227], v[102:103], v[8:9], v[10:11]
	v_fma_f64 v[204:205], v[96:97], v[16:17], -v[204:205]
	v_fma_f64 v[206:207], v[98:99], v[16:17], v[206:207]
	ds_load_b128 v[14:17], v180 offset:20000
	s_wait_loadcnt_dscnt 0xc03
	v_mul_f64_e32 v[228:229], v[110:111], v[58:59]
	v_mul_f64_e32 v[58:59], v[108:109], v[58:59]
	v_fma_f64 v[210:211], v[148:149], v[12:13], v[210:211]
	s_wait_loadcnt 0xa
	v_mul_f64_e32 v[12:13], v[6:7], v[54:55]
	v_mul_f64_e32 v[230:231], v[4:5], v[54:55]
	ds_load_b128 v[100:103], v180 offset:44000
	v_mul_f64_e32 v[224:225], v[196:197], v[26:27]
	v_mul_f64_e32 v[26:27], v[194:195], v[26:27]
	s_wait_loadcnt_dscnt 0x903
	v_mul_f64_e32 v[234:235], v[20:21], v[50:51]
	v_mul_f64_e32 v[236:237], v[18:19], v[50:51]
	v_fma_f64 v[214:215], v[162:163], v[36:37], -v[214:215]
	v_fma_f64 v[238:239], v[164:165], v[36:37], v[38:39]
	v_fma_f64 v[38:39], v[168:169], v[40:41], v[0:1]
	v_add_f64_e32 v[168:169], v[178:179], v[198:199]
	v_fma_f64 v[36:37], v[174:175], v[28:29], -v[2:3]
	v_add_f64_e32 v[174:175], v[218:219], v[220:221]
	ds_load_b128 v[8:11], v180 offset:54000
	ds_load_b128 v[96:99], v180 offset:32000
	v_fma_f64 v[212:213], v[154:155], v[44:45], -v[212:213]
	v_fma_f64 v[232:233], v[156:157], v[44:45], v[46:47]
	ds_load_b128 v[112:115], v180
	ds_load_b128 v[146:149], v180 offset:58000
	ds_load_b128 v[154:157], v186
	ds_load_b128 v[162:165], v185
	v_fma_f64 v[34:35], v[166:167], v[40:41], -v[216:217]
	v_fma_f64 v[40:41], v[176:177], v[28:29], v[30:31]
	v_fma_f64 v[42:43], v[190:191], v[32:33], -v[42:43]
	v_fma_f64 v[32:33], v[192:193], v[32:33], v[22:23]
	s_wait_loadcnt_dscnt 0x707
	v_mul_f64_e32 v[22:23], v[16:17], v[86:87]
	v_mul_f64_e32 v[86:87], v[14:15], v[86:87]
	s_wait_loadcnt 0x4
	v_mul_f64_e32 v[190:191], v[106:107], v[66:67]
	v_mul_f64_e32 v[66:67], v[104:105], v[66:67]
	v_add_f64_e64 v[28:29], v[200:201], -v[202:203]
	v_add_f64_e64 v[30:31], v[222:223], -v[226:227]
	s_wait_dscnt 0x5
	v_mul_f64_e32 v[166:167], v[10:11], v[82:83]
	v_mul_f64_e32 v[82:83], v[8:9], v[82:83]
	s_wait_dscnt 0x4
	v_mul_f64_e32 v[176:177], v[98:99], v[62:63]
	v_fma_f64 v[44:45], v[108:109], v[56:57], -v[228:229]
	v_fma_f64 v[50:51], v[110:111], v[56:57], v[58:59]
	s_wait_loadcnt 0x3
	v_mul_f64_e32 v[108:109], v[160:161], v[74:75]
	v_mul_f64_e32 v[74:75], v[158:159], v[74:75]
	s_wait_loadcnt 0x2
	v_mul_f64_e32 v[110:111], v[172:173], v[94:95]
	v_fma_f64 v[0:1], v[194:195], v[24:25], -v[224:225]
	v_fma_f64 v[2:3], v[196:197], v[24:25], v[26:27]
	v_mul_f64_e32 v[24:25], v[96:97], v[62:63]
	v_mul_f64_e32 v[26:27], v[102:103], v[70:71]
	v_mul_f64_e32 v[70:71], v[100:101], v[70:71]
	v_fma_f64 v[54:55], v[4:5], v[52:53], -v[12:13]
	v_fma_f64 v[46:47], v[6:7], v[52:53], v[230:231]
	s_wait_dscnt 0x3
	v_add_f64_e32 v[12:13], v[112:113], v[178:179]
	v_add_f64_e32 v[192:193], v[114:115], v[218:219]
	v_fma_f64 v[56:57], v[18:19], v[48:49], -v[234:235]
	v_fma_f64 v[52:53], v[20:21], v[48:49], v[236:237]
	s_wait_dscnt 0x1
	v_add_f64_e32 v[18:19], v[154:155], v[204:205]
	v_add_f64_e32 v[20:21], v[156:157], v[206:207]
	v_mul_f64_e32 v[94:95], v[170:171], v[94:95]
	v_fma_f64 v[168:169], v[168:169], -0.5, v[112:113]
	v_fma_f64 v[174:175], v[174:175], -0.5, v[114:115]
	s_wait_loadcnt 0x1
	v_mul_f64_e32 v[194:195], v[152:153], v[78:79]
	s_wait_loadcnt 0x0
	v_mul_f64_e32 v[196:197], v[148:149], v[90:91]
	v_mul_f64_e32 v[90:91], v[146:147], v[90:91]
	s_wait_dscnt 0x0
	v_add_f64_e32 v[230:231], v[162:163], v[34:35]
	v_fma_f64 v[48:49], v[14:15], v[84:85], -v[22:23]
	v_fma_f64 v[58:59], v[16:17], v[84:85], v[86:87]
	v_add_f64_e64 v[86:87], v[222:223], -v[218:219]
	v_add_f64_e64 v[228:229], v[34:35], -v[36:37]
	v_fma_f64 v[4:5], v[8:9], v[80:81], -v[166:167]
	v_fma_f64 v[6:7], v[10:11], v[80:81], v[82:83]
	v_mul_f64_e32 v[166:167], v[150:151], v[78:79]
	v_fma_f64 v[96:97], v[96:97], v[60:61], -v[176:177]
	v_fma_f64 v[8:9], v[104:105], v[64:65], -v[190:191]
	v_fma_f64 v[10:11], v[106:107], v[64:65], v[66:67]
	v_fma_f64 v[22:23], v[158:159], v[72:73], -v[108:109]
	v_add_f64_e32 v[158:159], v[208:209], v[212:213]
	v_add_f64_e64 v[176:177], v[206:207], -v[238:239]
	v_add_f64_e64 v[190:191], v[208:209], -v[212:213]
	v_fma_f64 v[98:99], v[98:99], v[60:61], v[24:25]
	v_fma_f64 v[62:63], v[100:101], v[68:69], -v[26:27]
	v_fma_f64 v[60:61], v[102:103], v[68:69], v[70:71]
	v_fma_f64 v[26:27], v[160:161], v[72:73], v[74:75]
	v_fma_f64 v[24:25], v[170:171], v[92:93], -v[110:111]
	v_add_f64_e32 v[64:65], v[12:13], v[200:201]
	v_add_f64_e32 v[66:67], v[192:193], v[222:223]
	v_add_f64_e64 v[72:73], v[200:201], -v[178:179]
	v_add_f64_e64 v[74:75], v[202:203], -v[198:199]
	v_add_f64_e32 v[68:69], v[18:19], v[208:209]
	v_add_f64_e32 v[70:71], v[20:21], v[210:211]
	v_fma_f64 v[20:21], v[172:173], v[92:93], v[94:95]
	v_add_f64_e64 v[92:93], v[226:227], -v[220:221]
	v_add_f64_e64 v[94:95], v[218:219], -v[220:221]
	;; [unrolled: 1-line block ×3, first 2 shown]
	v_fma_f64 v[102:103], v[30:31], s[14:15], v[168:169]
	v_fma_f64 v[104:105], v[28:29], s[12:13], v[174:175]
	v_fma_f64 v[16:17], v[150:151], v[76:77], -v[194:195]
	v_fma_f64 v[106:107], v[30:31], s[12:13], v[168:169]
	v_fma_f64 v[108:109], v[28:29], s[14:15], v[174:175]
	v_fma_f64 v[12:13], v[146:147], v[88:89], -v[196:197]
	v_fma_f64 v[14:15], v[148:149], v[88:89], v[90:91]
	v_add_f64_e32 v[88:89], v[222:223], v[226:227]
	v_add_f64_e64 v[90:91], v[178:179], -v[200:201]
	v_add_f64_e64 v[110:111], v[198:199], -v[202:203]
	;; [unrolled: 1-line block ×4, first 2 shown]
	v_add_f64_e32 v[150:151], v[204:205], v[214:215]
	v_add_f64_e32 v[160:161], v[210:211], v[232:233]
	v_add_f64_e64 v[168:169], v[212:213], -v[214:215]
	v_fma_f64 v[18:19], v[152:153], v[76:77], v[166:167]
	v_add_f64_e32 v[76:77], v[200:201], v[202:203]
	v_add_f64_e32 v[152:153], v[206:207], v[238:239]
	v_add_f64_e64 v[166:167], v[208:209], -v[204:205]
	v_add_f64_e64 v[170:171], v[210:211], -v[206:207]
	;; [unrolled: 1-line block ×6, first 2 shown]
	v_add_f64_e32 v[196:197], v[36:37], v[42:43]
	v_add_f64_e32 v[204:205], v[38:39], v[2:3]
	;; [unrolled: 1-line block ×10, first 2 shown]
	ds_load_b128 v[78:81], v184
	ds_load_b128 v[82:85], v183
	v_add_f64_e32 v[92:93], v[86:87], v[92:93]
	v_add_f64_e64 v[172:173], v[232:233], -v[238:239]
	v_add_f64_e32 v[208:209], v[44:45], v[4:5]
	v_fma_f64 v[72:73], v[94:95], s[6:7], v[102:103]
	v_fma_f64 v[74:75], v[100:101], s[10:11], v[104:105]
	v_add_f64_e64 v[102:103], v[214:215], -v[212:213]
	v_fma_f64 v[86:87], v[94:95], s[10:11], v[106:107]
	v_fma_f64 v[104:105], v[100:101], s[6:7], v[108:109]
	v_add_f64_e32 v[212:213], v[96:97], v[62:63]
	v_add_f64_e32 v[224:225], v[24:25], v[16:17]
	v_add_f64_e32 v[106:107], v[54:55], v[56:57]
	v_add_f64_e32 v[218:219], v[48:49], v[8:9]
	v_add_f64_e32 v[226:227], v[22:23], v[12:13]
	v_add_f64_e32 v[90:91], v[90:91], v[110:111]
	v_add_f64_e64 v[110:111], v[32:33], -v[2:3]
	v_add_f64_e32 v[146:147], v[146:147], v[148:149]
	v_add_f64_e64 v[148:149], v[44:45], -v[54:55]
	v_add_f64_e32 v[200:201], v[40:41], v[32:33]
	v_add_f64_e32 v[108:109], v[46:47], v[52:53]
	v_fma_f64 v[76:77], v[76:77], -0.5, v[112:113]
	v_fma_f64 v[112:113], v[88:89], -0.5, v[114:115]
	;; [unrolled: 1-line block ×4, first 2 shown]
	v_add_f64_e64 v[160:161], v[238:239], -v[232:233]
	v_add_f64_e32 v[166:167], v[166:167], v[168:169]
	v_add_f64_e64 v[168:169], v[4:5], -v[56:57]
	v_add_f64_e32 v[70:71], v[70:71], v[232:233]
	v_fma_f64 v[196:197], v[196:197], -0.5, v[162:163]
	v_add_f64_e64 v[232:233], v[14:15], -v[18:19]
	v_fma_f64 v[150:151], v[150:151], -0.5, v[154:155]
	v_fma_f64 v[154:155], v[158:159], -0.5, v[154:155]
	v_add_f64_e32 v[64:65], v[64:65], v[198:199]
	v_add_f64_e32 v[66:67], v[66:67], v[220:221]
	v_add_f64_e64 v[220:221], v[38:39], -v[40:41]
	v_fma_f64 v[162:163], v[202:203], -0.5, v[162:163]
	v_add_f64_e32 v[68:69], v[68:69], v[214:215]
	v_add_f64_e64 v[214:215], v[2:3], -v[32:33]
	v_fma_f64 v[202:203], v[204:205], -0.5, v[164:165]
	v_add_f64_e64 v[204:205], v[36:37], -v[34:35]
	v_add_f64_e32 v[170:171], v[170:171], v[172:173]
	v_add_f64_e64 v[172:173], v[50:51], -v[46:47]
	v_fma_f64 v[72:73], v[206:207], s[2:3], v[72:73]
	v_fma_f64 v[74:75], v[92:93], s[2:3], v[74:75]
	v_add_f64_e32 v[102:103], v[192:193], v[102:103]
	v_fma_f64 v[86:87], v[206:207], s[2:3], v[86:87]
	v_fma_f64 v[88:89], v[92:93], s[2:3], v[104:105]
	v_add_f64_e64 v[92:93], v[40:41], -v[38:39]
	s_wait_dscnt 0x1
	v_fma_f64 v[206:207], v[210:211], -0.5, v[80:81]
	s_wait_dscnt 0x0
	v_fma_f64 v[210:211], v[212:213], -0.5, v[82:83]
	v_fma_f64 v[212:213], v[216:217], -0.5, v[84:85]
	;; [unrolled: 1-line block ×4, first 2 shown]
	v_add_f64_e64 v[224:225], v[42:43], -v[0:1]
	v_add_f64_e32 v[104:105], v[78:79], v[44:45]
	v_fma_f64 v[106:107], v[106:107], -0.5, v[78:79]
	v_fma_f64 v[78:79], v[208:209], -0.5, v[78:79]
	v_add_f64_e32 v[208:209], v[82:83], v[48:49]
	v_fma_f64 v[82:83], v[218:219], -0.5, v[82:83]
	v_add_f64_e32 v[218:219], v[116:117], v[22:23]
	v_fma_f64 v[116:117], v[226:227], -0.5, v[116:117]
	v_add_f64_e64 v[192:193], v[6:7], -v[52:53]
	v_add_f64_e32 v[160:161], v[178:179], v[160:161]
	v_add_f64_e64 v[178:179], v[54:55], -v[44:45]
	v_add_f64_e64 v[226:227], v[56:57], -v[4:5]
	v_add_f64_e32 v[148:149], v[148:149], v[168:169]
	v_add_f64_e64 v[168:169], v[8:9], -v[62:63]
	v_add_f64_e64 v[198:199], v[0:1], -v[42:43]
	v_fma_f64 v[200:201], v[200:201], -0.5, v[164:165]
	v_add_f64_e32 v[164:165], v[164:165], v[38:39]
	v_fma_f64 v[108:109], v[108:109], -0.5, v[80:81]
	v_add_f64_e32 v[80:81], v[80:81], v[50:51]
	v_add_f64_e32 v[84:85], v[84:85], v[58:59]
	v_add_f64_e64 v[44:45], v[44:45], -v[4:5]
	v_add_f64_e64 v[38:39], v[38:39], -v[2:3]
	v_add_f64_e32 v[214:215], v[220:221], v[214:215]
	v_add_f64_e64 v[220:221], v[46:47], -v[50:51]
	v_add_f64_e64 v[34:35], v[34:35], -v[0:1]
	v_add_f64_e32 v[114:115], v[20:21], v[18:19]
	v_add_f64_e32 v[158:159], v[26:27], v[14:15]
	v_add_f64_e64 v[50:51], v[50:51], -v[6:7]
	v_add_f64_e64 v[236:237], v[26:27], -v[14:15]
	;; [unrolled: 1-line block ×4, first 2 shown]
	v_add_f64_e32 v[70:71], v[70:71], v[238:239]
	v_add_f64_e32 v[92:93], v[92:93], v[110:111]
	v_add_f64_e64 v[110:111], v[48:49], -v[96:97]
	global_wb scope:SCOPE_SE
	s_barrier_signal -1
	s_barrier_wait -1
	global_inv scope:SCOPE_SE
	v_add_f64_e32 v[204:205], v[204:205], v[224:225]
	v_add_f64_e64 v[224:225], v[52:53], -v[6:7]
	v_add_f64_e32 v[104:105], v[104:105], v[54:55]
	v_add_f64_e64 v[54:55], v[54:55], -v[56:57]
	;; [unrolled: 2-line block ×5, first 2 shown]
	v_add_f64_e32 v[80:81], v[80:81], v[46:47]
	v_add_f64_e32 v[84:85], v[84:85], v[98:99]
	v_add_f64_e64 v[46:47], v[46:47], -v[52:53]
	v_fma_f64 v[114:115], v[114:115], -0.5, v[118:119]
	v_fma_f64 v[158:159], v[158:159], -0.5, v[118:119]
	v_add_f64_e32 v[118:119], v[118:119], v[26:27]
	v_add_f64_e32 v[110:111], v[110:111], v[168:169]
	v_add_f64_e64 v[168:169], v[62:63], -v[8:9]
	v_add_f64_e32 v[220:221], v[220:221], v[224:225]
	v_add_f64_e64 v[224:225], v[96:97], -v[48:49]
	v_add_f64_e32 v[56:57], v[104:105], v[56:57]
	v_fma_f64 v[104:105], v[176:177], s[12:13], v[154:155]
	v_fma_f64 v[154:155], v[176:177], s[14:15], v[154:155]
	v_add_f64_e32 v[192:193], v[192:193], v[226:227]
	v_add_f64_e64 v[226:227], v[98:99], -v[58:59]
	v_add_f64_e64 v[58:59], v[58:59], -v[10:11]
	;; [unrolled: 1-line block ×3, first 2 shown]
	v_add_f64_e32 v[52:53], v[80:81], v[52:53]
	v_fma_f64 v[80:81], v[194:195], s[14:15], v[156:157]
	v_fma_f64 v[156:157], v[194:195], s[12:13], v[156:157]
	v_add_f64_e32 v[84:85], v[84:85], v[60:61]
	v_add_f64_e32 v[118:119], v[118:119], v[20:21]
	;; [unrolled: 1-line block ×3, first 2 shown]
	v_add_f64_e64 v[224:225], v[60:61], -v[10:11]
	v_fma_f64 v[60:61], v[34:35], s[14:15], v[200:201]
	v_fma_f64 v[104:105], v[174:175], s[6:7], v[104:105]
	;; [unrolled: 1-line block ×3, first 2 shown]
	v_add_f64_e32 v[4:5], v[56:57], v[4:5]
	v_fma_f64 v[246:247], v[98:99], s[14:15], v[82:83]
	v_add_f64_e32 v[6:7], v[52:53], v[6:7]
	v_fma_f64 v[80:81], v[190:191], s[10:11], v[80:81]
	v_fma_f64 v[156:157], v[190:191], s[6:7], v[156:157]
	v_add_f64_e32 v[10:11], v[84:85], v[10:11]
	v_add_f64_e32 v[224:225], v[226:227], v[224:225]
	v_add_f64_e64 v[226:227], v[22:23], -v[24:25]
	s_delay_alu instid0(VALU_DEP_1) | instskip(SKIP_1) | instid1(VALU_DEP_1)
	v_add_f64_e32 v[226:227], v[226:227], v[228:229]
	v_add_f64_e64 v[228:229], v[26:27], -v[20:21]
	v_add_f64_e32 v[228:229], v[228:229], v[232:233]
	v_fma_f64 v[232:233], v[94:95], s[12:13], v[76:77]
	v_fma_f64 v[76:77], v[94:95], s[14:15], v[76:77]
	;; [unrolled: 1-line block ×4, first 2 shown]
	v_and_b32_e32 v112, 0xffff, v140
	v_lshlrev_b32_e32 v113, 4, v141
	v_add_f64_e32 v[140:141], v[164:165], v[40:41]
	v_add_f64_e64 v[40:41], v[40:41], -v[32:33]
	v_add_f64_e32 v[164:165], v[208:209], v[96:97]
	v_mul_u32_u24_e32 v112, 0x4b0, v112
	v_add_f64_e64 v[208:209], v[48:49], -v[8:9]
	v_add_f64_e64 v[96:97], v[96:97], -v[62:63]
	v_fma_f64 v[48:49], v[38:39], s[12:13], v[196:197]
	s_delay_alu instid0(VALU_DEP_4) | instskip(SKIP_2) | instid1(VALU_DEP_2)
	v_add3_u32 v248, 0, v112, v113
	v_and_b32_e32 v112, 0xffff, v143
	v_lshlrev_b32_e32 v113, 4, v145
	v_mul_u32_u24_e32 v112, 0x4b0, v112
	s_delay_alu instid0(VALU_DEP_1)
	v_add3_u32 v143, 0, v112, v113
	v_add_f64_e32 v[112:113], v[230:231], v[36:37]
	v_add_f64_e64 v[36:37], v[36:37], -v[42:43]
	v_fma_f64 v[76:77], v[30:31], s[10:11], v[76:77]
	v_fma_f64 v[94:95], v[28:29], s[10:11], v[94:95]
	;; [unrolled: 1-line block ×3, first 2 shown]
	v_add_f64_e32 v[140:141], v[140:141], v[32:33]
	v_fma_f64 v[32:33], v[190:191], s[12:13], v[152:153]
	v_fma_f64 v[152:153], v[190:191], s[14:15], v[152:153]
	v_add_f64_e32 v[164:165], v[164:165], v[62:63]
	v_fma_f64 v[62:63], v[38:39], s[14:15], v[196:197]
	v_fma_f64 v[196:197], v[34:35], s[12:13], v[200:201]
	;; [unrolled: 1-line block ×9, first 2 shown]
	v_add_f64_e32 v[112:113], v[112:113], v[42:43]
	v_fma_f64 v[42:43], v[174:175], s[14:15], v[150:151]
	v_fma_f64 v[150:151], v[174:175], s[12:13], v[150:151]
	;; [unrolled: 1-line block ×7, first 2 shown]
	v_add_f64_e32 v[2:3], v[140:141], v[2:3]
	v_fma_f64 v[230:231], v[194:195], s[10:11], v[32:33]
	v_fma_f64 v[32:33], v[44:45], s[14:15], v[108:109]
	;; [unrolled: 1-line block ×17, first 2 shown]
	v_add_f64_e32 v[8:9], v[164:165], v[8:9]
	v_add_f64_e32 v[0:1], v[112:113], v[0:1]
	v_fma_f64 v[42:43], v[176:177], s[6:7], v[42:43]
	v_fma_f64 v[150:151], v[176:177], s[10:11], v[150:151]
	;; [unrolled: 1-line block ×8, first 2 shown]
	v_add_f64_e32 v[200:201], v[218:219], v[24:25]
	v_add_f64_e64 v[100:101], v[20:21], -v[26:27]
	v_fma_f64 v[145:146], v[236:237], s[14:15], v[222:223]
	v_add_f64_e64 v[218:219], v[18:19], -v[14:15]
	v_fma_f64 v[174:175], v[50:51], s[6:7], v[174:175]
	v_fma_f64 v[78:79], v[50:51], s[10:11], v[78:79]
	;; [unrolled: 1-line block ×5, first 2 shown]
	v_add_f64_e64 v[108:109], v[24:25], -v[16:17]
	v_fma_f64 v[32:33], v[90:91], s[2:3], v[76:77]
	v_fma_f64 v[76:77], v[98:99], s[12:13], v[82:83]
	;; [unrolled: 1-line block ×9, first 2 shown]
	v_add_f64_e64 v[210:211], v[24:25], -v[22:23]
	v_add_f64_e64 v[212:213], v[16:17], -v[12:13]
	v_fma_f64 v[216:217], v[242:243], s[14:15], v[116:117]
	v_fma_f64 v[116:117], v[242:243], s[12:13], v[116:117]
	ds_store_b128 v248, v[64:67]
	ds_store_b128 v248, v[28:31] offset:240
	ds_store_b128 v248, v[72:75] offset:480
	;; [unrolled: 1-line block ×4, first 2 shown]
	v_fma_f64 v[106:107], v[46:47], s[10:11], v[106:107]
	v_fma_f64 v[72:73], v[58:59], s[6:7], v[246:247]
	;; [unrolled: 1-line block ×12, first 2 shown]
	v_add_f64_e32 v[104:105], v[200:201], v[16:17]
	v_add_f64_e32 v[114:115], v[118:119], v[18:19]
	v_fma_f64 v[94:95], v[108:109], s[10:11], v[206:207]
	v_fma_f64 v[90:91], v[242:243], s[10:11], v[145:146]
	v_add_f64_e32 v[108:109], v[210:211], v[212:213]
	v_fma_f64 v[118:119], v[236:237], s[6:7], v[216:217]
	v_add_f64_e32 v[100:101], v[100:101], v[218:219]
	v_fma_f64 v[20:21], v[166:167], s[2:3], v[150:151]
	v_fma_f64 v[116:117], v[236:237], s[10:11], v[116:117]
	;; [unrolled: 1-line block ×13, first 2 shown]
	ds_store_b128 v143, v[68:71]
	ds_store_b128 v143, v[36:39] offset:240
	v_fma_f64 v[38:39], v[172:173], s[2:3], v[54:55]
	v_fma_f64 v[52:53], v[178:179], s[2:3], v[174:175]
	;; [unrolled: 1-line block ×18, first 2 shown]
	v_add_f64_e32 v[12:13], v[104:105], v[12:13]
	v_add_f64_e32 v[14:15], v[114:115], v[14:15]
	v_mul_u32_u24_e32 v92, 0x4b0, v136
	v_lshlrev_b32_e32 v93, 4, v137
	v_fma_f64 v[76:77], v[226:227], s[2:3], v[88:89]
	v_fma_f64 v[78:79], v[228:229], s[2:3], v[94:95]
	;; [unrolled: 1-line block ×6, first 2 shown]
	v_add3_u32 v92, 0, v92, v93
	ds_store_b128 v143, v[40:43] offset:480
	ds_store_b128 v143, v[20:23] offset:720
	;; [unrolled: 1-line block ×3, first 2 shown]
	ds_store_b128 v92, v[0:3]
	ds_store_b128 v92, v[44:47] offset:240
	ds_store_b128 v92, v[16:19] offset:480
	;; [unrolled: 1-line block ×4, first 2 shown]
	v_add_nc_u32_e32 v2, 0xffffffb5, v124
	v_mul_u32_u24_e32 v94, 0x4b0, v138
	v_lshlrev_b32_e32 v95, 4, v139
	v_mul_u32_u24_e32 v0, 0x4b0, v142
	v_lshlrev_b32_e32 v1, 4, v144
	s_wait_alu 0xf1ff
	v_cndmask_b32_e64 v191, v2, v124, s0
	v_lshlrev_b32_e32 v2, 4, v123
	v_add3_u32 v20, 0, v94, v95
	v_mov_b32_e32 v137, 0
	v_add3_u32 v0, 0, v0, v1
	v_mul_u32_u24_e32 v1, 0x4b0, v122
	v_fma_f64 v[86:87], v[100:101], s[2:3], v[145:146]
	v_fma_f64 v[90:91], v[100:101], s[2:3], v[150:151]
	v_mul_i32_i24_e32 v136, 9, v191
	ds_store_b128 v20, v[4:7]
	ds_store_b128 v20, v[32:35] offset:240
	ds_store_b128 v20, v[52:55] offset:480
	;; [unrolled: 1-line block ×4, first 2 shown]
	ds_store_b128 v0, v[8:11]
	ds_store_b128 v0, v[60:63] offset:240
	v_add3_u32 v2, 0, v1, v2
	ds_store_b128 v0, v[68:71] offset:480
	ds_store_b128 v0, v[72:75] offset:720
	;; [unrolled: 1-line block ×3, first 2 shown]
	v_lshlrev_b64_e32 v[0:1], 4, v[136:137]
	ds_store_b128 v2, v[12:15]
	ds_store_b128 v2, v[76:79] offset:240
	ds_store_b128 v2, v[84:87] offset:480
	;; [unrolled: 1-line block ×4, first 2 shown]
	v_add_co_u32 v16, s0, s4, v0
	s_wait_alu 0xf1ff
	v_add_co_ci_u32_e64 v17, s0, s5, v1, s0
	global_wb scope:SCOPE_SE
	s_wait_dscnt 0x0
	s_barrier_signal -1
	s_barrier_wait -1
	global_inv scope:SCOPE_SE
	s_clause 0x3
	global_load_b128 v[12:15], v[16:17], off offset:1152
	global_load_b128 v[8:11], v[16:17], off offset:1168
	;; [unrolled: 1-line block ×4, first 2 shown]
	v_mul_lo_u16 v18, 0xdb, v121
	v_mul_u32_u24_e32 v19, 0xb4e9, v120
	s_clause 0x3
	global_load_b128 v[48:51], v[16:17], off offset:1216
	global_load_b128 v[44:47], v[16:17], off offset:1232
	;; [unrolled: 1-line block ×4, first 2 shown]
	v_lshrrev_b16 v193, 14, v18
	v_lshrrev_b32_e32 v18, 16, v19
	global_load_b128 v[32:35], v[16:17], off offset:1280
	v_lshl_add_u32 v190, v128, 4, 0
	v_cmp_lt_u32_e64 s0, 0x4a, v124
	v_mul_lo_u16 v19, 0x4b, v193
	v_sub_nc_u16 v20, v135, v18
	s_delay_alu instid0(VALU_DEP_2) | instskip(NEXT) | instid1(VALU_DEP_2)
	v_sub_nc_u16 v19, v129, v19
	v_lshrrev_b16 v20, 1, v20
	s_delay_alu instid0(VALU_DEP_2) | instskip(NEXT) | instid1(VALU_DEP_2)
	v_and_b32_e32 v194, 0xff, v19
	v_add_nc_u16 v18, v20, v18
	s_delay_alu instid0(VALU_DEP_2) | instskip(NEXT) | instid1(VALU_DEP_2)
	v_mul_u32_u24_e32 v19, 9, v194
	v_lshrrev_b16 v136, 6, v18
	s_delay_alu instid0(VALU_DEP_2) | instskip(NEXT) | instid1(VALU_DEP_2)
	v_lshlrev_b32_e32 v64, 4, v19
	v_mul_lo_u16 v16, 0x4b, v136
	s_clause 0x1
	global_load_b128 v[28:31], v64, s[4:5] offset:1168
	global_load_b128 v[24:27], v64, s[4:5] offset:1200
	v_sub_nc_u16 v16, v135, v16
	global_load_b128 v[20:23], v64, s[4:5] offset:1232
	v_and_b32_e32 v192, 0xffff, v16
	global_load_b128 v[16:19], v64, s[4:5] offset:1264
	v_mul_u32_u24_e32 v52, 9, v192
	s_delay_alu instid0(VALU_DEP_1)
	v_lshlrev_b32_e32 v88, 4, v52
	s_clause 0xd
	global_load_b128 v[52:55], v88, s[4:5] offset:1168
	global_load_b128 v[56:59], v88, s[4:5] offset:1200
	;; [unrolled: 1-line block ×14, first 2 shown]
	ds_load_b128 v[120:123], v184
	ds_load_b128 v[116:119], v189
	ds_load_b128 v[112:115], v190
	ds_load_b128 v[108:111], v180 offset:24000
	ds_load_b128 v[152:155], v185
	ds_load_b128 v[138:141], v180 offset:30000
	ds_load_b128 v[142:145], v180 offset:36000
	;; [unrolled: 1-line block ×13, first 2 shown]
	s_wait_loadcnt_dscnt 0x1a11
	v_mul_f64_e32 v[150:151], v[122:123], v[14:15]
	v_mul_f64_e32 v[14:15], v[120:121], v[14:15]
	s_wait_loadcnt_dscnt 0x1910
	v_mul_f64_e32 v[211:212], v[118:119], v[10:11]
	v_mul_f64_e32 v[10:11], v[116:117], v[10:11]
	;; [unrolled: 3-line block ×7, first 2 shown]
	v_fma_f64 v[50:51], v[120:121], v[12:13], -v[150:151]
	v_fma_f64 v[46:47], v[122:123], v[12:13], v[14:15]
	s_wait_loadcnt_dscnt 0x1308
	v_mul_f64_e32 v[150:151], v[160:161], v[38:39]
	v_fma_f64 v[14:15], v[118:119], v[8:9], v[10:11]
	v_mul_f64_e32 v[10:11], v[162:163], v[38:39]
	v_fma_f64 v[38:39], v[112:113], v[4:5], -v[213:214]
	v_fma_f64 v[42:43], v[114:115], v[4:5], v[215:216]
	s_wait_loadcnt_dscnt 0x1206
	v_mul_f64_e32 v[4:5], v[170:171], v[34:35]
	v_mul_f64_e32 v[34:35], v[168:169], v[34:35]
	v_fma_f64 v[108:109], v[108:109], v[0:1], -v[217:218]
	v_fma_f64 v[110:111], v[110:111], v[0:1], v[2:3]
	s_wait_loadcnt_dscnt 0x1104
	v_mul_f64_e32 v[0:1], v[178:179], v[30:31]
	v_fma_f64 v[12:13], v[116:117], v[8:9], -v[211:212]
	ds_load_b128 v[6:9], v180 offset:46000
	ds_load_b128 v[215:218], v180 offset:40000
	;; [unrolled: 1-line block ×3, first 2 shown]
	v_mul_f64_e32 v[2:3], v[176:177], v[30:31]
	s_wait_loadcnt 0x10
	v_mul_f64_e32 v[231:232], v[148:149], v[26:27]
	v_mul_f64_e32 v[233:234], v[146:147], v[26:27]
	v_fma_f64 v[112:113], v[138:139], v[48:49], -v[219:220]
	v_fma_f64 v[114:115], v[140:141], v[48:49], v[221:222]
	ds_load_b128 v[219:222], v180 offset:52000
	s_wait_loadcnt_dscnt 0xf07
	v_mul_f64_e32 v[48:49], v[197:198], v[22:23]
	v_mul_f64_e32 v[235:236], v[195:196], v[22:23]
	v_fma_f64 v[118:119], v[142:143], v[44:45], -v[223:224]
	v_fma_f64 v[116:117], v[144:145], v[44:45], v[225:226]
	s_wait_loadcnt_dscnt 0xe05
	v_mul_f64_e32 v[44:45], v[205:206], v[18:19]
	v_mul_f64_e32 v[223:224], v[203:204], v[18:19]
	v_fma_f64 v[122:123], v[156:157], v[40:41], -v[227:228]
	v_fma_f64 v[120:121], v[158:159], v[40:41], v[229:230]
	ds_load_b128 v[156:159], v180 offset:8000
	s_wait_loadcnt 0xc
	v_mul_f64_e32 v[225:226], v[166:167], v[58:59]
	v_mul_f64_e32 v[227:228], v[164:165], v[58:59]
	s_wait_dscnt 0x2
	v_mul_f64_e32 v[40:41], v[213:214], v[54:55]
	v_mul_f64_e32 v[54:55], v[211:212], v[54:55]
	v_fma_f64 v[26:27], v[162:163], v[36:37], v[150:151]
	s_wait_loadcnt_dscnt 0xa01
	v_mul_f64_e32 v[229:230], v[219:220], v[106:107]
	v_fma_f64 v[30:31], v[160:161], v[36:37], -v[10:11]
	v_mul_f64_e32 v[10:11], v[217:218], v[62:63]
	v_mul_f64_e32 v[36:37], v[215:216], v[62:63]
	v_fma_f64 v[22:23], v[168:169], v[32:33], -v[4:5]
	v_fma_f64 v[18:19], v[170:171], v[32:33], v[34:35]
	ds_load_b128 v[160:163], v180 offset:20000
	ds_load_b128 v[168:171], v180 offset:32000
	v_fma_f64 v[32:33], v[176:177], v[28:29], -v[0:1]
	v_mul_f64_e32 v[0:1], v[221:222], v[106:107]
	v_fma_f64 v[34:35], v[178:179], v[28:29], v[2:3]
	ds_load_b128 v[176:179], v180 offset:10000
	v_fma_f64 v[138:139], v[146:147], v[24:25], -v[231:232]
	v_fma_f64 v[140:141], v[148:149], v[24:25], v[233:234]
	ds_load_b128 v[144:147], v180 offset:22000
	ds_load_b128 v[148:151], v180 offset:58000
	s_wait_loadcnt_dscnt 0x905
	v_mul_f64_e32 v[231:232], v[156:157], v[102:103]
	v_fma_f64 v[142:143], v[195:196], v[20:21], -v[48:49]
	v_fma_f64 v[106:107], v[197:198], v[20:21], v[235:236]
	v_mul_f64_e32 v[20:21], v[158:159], v[102:103]
	ds_load_b128 v[195:198], v186
	v_fma_f64 v[4:5], v[203:204], v[16:17], -v[44:45]
	v_fma_f64 v[2:3], v[205:206], v[16:17], v[223:224]
	s_wait_loadcnt_dscnt 0x805
	v_mul_f64_e32 v[16:17], v[162:163], v[98:99]
	v_mul_f64_e32 v[44:45], v[160:161], v[98:99]
	s_wait_loadcnt_dscnt 0x704
	v_mul_f64_e32 v[203:204], v[170:171], v[94:95]
	v_mul_f64_e32 v[205:206], v[168:169], v[94:95]
	v_fma_f64 v[58:59], v[164:165], v[56:57], -v[225:226]
	v_fma_f64 v[48:49], v[166:167], v[56:57], v[227:228]
	v_add_f64_e64 v[227:228], v[114:115], -v[42:43]
	v_fma_f64 v[28:29], v[211:212], v[52:53], -v[40:41]
	v_fma_f64 v[24:25], v[213:214], v[52:53], v[54:55]
	s_wait_loadcnt 0x6
	v_mul_f64_e32 v[52:53], v[201:202], v[86:87]
	v_mul_f64_e32 v[54:55], v[199:200], v[86:87]
	s_wait_loadcnt 0x5
	v_mul_f64_e32 v[211:212], v[209:210], v[82:83]
	v_mul_f64_e32 v[213:214], v[207:208], v[82:83]
	s_wait_loadcnt_dscnt 0x403
	v_mul_f64_e32 v[56:57], v[178:179], v[78:79]
	v_mul_f64_e32 v[164:165], v[176:177], v[78:79]
	s_wait_loadcnt_dscnt 0x302
	v_mul_f64_e32 v[166:167], v[146:147], v[74:75]
	v_mul_f64_e32 v[223:224], v[144:145], v[74:75]
	v_fma_f64 v[62:63], v[215:216], v[60:61], -v[10:11]
	v_fma_f64 v[40:41], v[217:218], v[60:61], v[36:37]
	s_wait_loadcnt 0x2
	v_mul_f64_e32 v[60:61], v[174:175], v[70:71]
	v_mul_f64_e32 v[215:216], v[172:173], v[70:71]
	s_wait_loadcnt 0x1
	v_mul_f64_e32 v[217:218], v[8:9], v[66:67]
	v_mul_f64_e32 v[66:67], v[6:7], v[66:67]
	v_fma_f64 v[10:11], v[219:220], v[104:105], -v[0:1]
	v_fma_f64 v[0:1], v[221:222], v[104:105], v[229:230]
	ds_load_b128 v[102:105], v180
	s_wait_loadcnt_dscnt 0x2
	v_mul_f64_e32 v[219:220], v[150:151], v[90:91]
	v_mul_f64_e32 v[221:222], v[148:149], v[90:91]
	v_add_f64_e64 v[225:226], v[122:123], -v[22:23]
	v_add_f64_e64 v[229:230], v[120:121], -v[18:19]
	;; [unrolled: 1-line block ×3, first 2 shown]
	v_fma_f64 v[94:95], v[158:159], v[100:101], v[231:232]
	v_add_f64_e64 v[231:232], v[32:33], -v[138:139]
	global_wb scope:SCOPE_SE
	s_wait_dscnt 0x0
	v_fma_f64 v[98:99], v[156:157], v[100:101], -v[20:21]
	s_barrier_signal -1
	v_add_f64_e64 v[233:234], v[4:5], -v[142:143]
	v_add_f64_e32 v[100:101], v[34:35], v[2:3]
	v_fma_f64 v[36:37], v[160:161], v[96:97], -v[16:17]
	v_fma_f64 v[44:45], v[162:163], v[96:97], v[44:45]
	v_fma_f64 v[90:91], v[168:169], v[92:93], -v[203:204]
	v_fma_f64 v[92:93], v[170:171], v[92:93], v[205:206]
	v_add_f64_e32 v[96:97], v[140:141], v[106:107]
	v_add_f64_e64 v[170:171], v[14:15], -v[110:111]
	v_add_f64_e64 v[237:238], v[2:3], -v[106:107]
	v_add_f64_e32 v[158:159], v[102:103], v[12:13]
	v_add_f64_e32 v[160:161], v[104:105], v[14:15]
	v_fma_f64 v[86:87], v[199:200], v[84:85], -v[52:53]
	v_fma_f64 v[82:83], v[201:202], v[84:85], v[54:55]
	v_fma_f64 v[20:21], v[207:208], v[80:81], -v[211:212]
	v_fma_f64 v[16:17], v[209:210], v[80:81], v[213:214]
	;; [unrolled: 2-line block ×4, first 2 shown]
	v_add_f64_e32 v[56:57], v[108:109], v[118:119]
	v_add_f64_e32 v[76:77], v[14:15], v[26:27]
	v_fma_f64 v[70:71], v[172:173], v[68:69], -v[60:61]
	v_fma_f64 v[72:73], v[174:175], v[68:69], v[215:216]
	v_fma_f64 v[68:69], v[6:7], v[64:65], -v[217:218]
	v_fma_f64 v[66:67], v[8:9], v[64:65], v[66:67]
	v_add_f64_e32 v[60:61], v[12:13], v[30:31]
	v_add_f64_e32 v[64:65], v[110:111], v[116:117]
	v_add_f64_e64 v[80:81], v[12:13], -v[108:109]
	v_fma_f64 v[8:9], v[148:149], v[88:89], -v[219:220]
	v_fma_f64 v[6:7], v[150:151], v[88:89], v[221:222]
	v_add_f64_e64 v[148:149], v[30:31], -v[118:119]
	v_add_f64_e32 v[84:85], v[138:139], v[142:143]
	v_add_f64_e32 v[88:89], v[32:33], v[4:5]
	v_add_f64_e32 v[199:200], v[58:59], v[62:63]
	v_add_f64_e32 v[201:202], v[28:29], v[10:11]
	v_add_f64_e32 v[203:204], v[48:49], v[40:41]
	v_add_f64_e32 v[205:206], v[24:25], v[0:1]
	v_add_f64_e64 v[207:208], v[38:39], -v[112:113]
	v_add_f64_e64 v[209:210], v[22:23], -v[122:123]
	v_add_f64_e64 v[211:212], v[42:43], -v[114:115]
	v_add_f64_e64 v[213:214], v[108:109], -v[12:13]
	v_add_f64_e64 v[215:216], v[118:119], -v[30:31]
	v_add_f64_e64 v[217:218], v[110:111], -v[14:15]
	v_add_f64_e64 v[219:220], v[116:117], -v[26:27]
	v_add_f64_e64 v[221:222], v[112:113], -v[38:39]
	v_add_f64_e64 v[223:224], v[18:19], -v[120:121]
	v_add_f64_e32 v[164:165], v[195:196], v[32:33]
	v_add_f64_e32 v[166:167], v[197:198], v[34:35]
	;; [unrolled: 1-line block ×3, first 2 shown]
	v_fma_f64 v[144:145], v[100:101], -0.5, v[197:198]
	v_add_f64_e32 v[176:177], v[154:155], v[24:25]
	v_add_f64_e32 v[158:159], v[158:159], v[108:109]
	v_add_f64_e32 v[160:161], v[160:161], v[110:111]
	v_add_f64_e64 v[174:175], v[26:27], -v[116:117]
	v_add_f64_e64 v[108:109], v[108:109], -v[118:119]
	;; [unrolled: 1-line block ×4, first 2 shown]
	v_fma_f64 v[162:163], v[56:57], -0.5, v[102:103]
	v_fma_f64 v[168:169], v[76:77], -0.5, v[104:105]
	v_add_f64_e64 v[241:242], v[20:21], -v[86:87]
	v_add_f64_e64 v[243:244], v[44:45], -v[92:93]
	;; [unrolled: 1-line block ×4, first 2 shown]
	v_fma_f64 v[172:173], v[60:61], -0.5, v[102:103]
	v_fma_f64 v[156:157], v[64:65], -0.5, v[104:105]
	;; [unrolled: 1-line block ×3, first 2 shown]
	v_add_f64_e64 v[197:198], v[142:143], -v[4:5]
	v_add_f64_e64 v[12:13], v[12:13], -v[30:31]
	v_add_f64_e32 v[56:57], v[80:81], v[148:149]
	v_fma_f64 v[146:147], v[84:85], -0.5, v[195:196]
	v_fma_f64 v[150:151], v[88:89], -0.5, v[195:196]
	v_add_f64_e64 v[195:196], v[138:139], -v[32:33]
	v_fma_f64 v[84:85], v[199:200], -0.5, v[152:153]
	v_fma_f64 v[96:97], v[201:202], -0.5, v[152:153]
	;; [unrolled: 1-line block ×4, first 2 shown]
	v_add_f64_e64 v[199:200], v[140:141], -v[34:35]
	v_add_f64_e64 v[201:202], v[106:107], -v[2:3]
	;; [unrolled: 1-line block ×4, first 2 shown]
	v_add_f64_e32 v[148:149], v[207:208], v[209:210]
	v_add_f64_e64 v[207:208], v[92:93], -v[44:45]
	v_add_f64_e64 v[209:210], v[82:83], -v[16:17]
	v_add_f64_e32 v[152:153], v[211:212], v[223:224]
	v_add_f64_e32 v[64:65], v[213:214], v[215:216]
	v_add_f64_e64 v[211:212], v[28:29], -v[58:59]
	v_add_f64_e32 v[104:105], v[217:218], v[219:220]
	v_add_f64_e64 v[213:214], v[10:11], -v[62:63]
	;; [unrolled: 2-line block ×4, first 2 shown]
	v_add_f64_e64 v[223:224], v[52:53], -v[70:71]
	v_add_f64_e64 v[225:226], v[8:9], -v[68:69]
	v_add_f64_e64 v[227:228], v[54:55], -v[72:73]
	v_add_f64_e64 v[229:230], v[6:7], -v[66:67]
	v_add_f64_e32 v[118:119], v[158:159], v[118:119]
	v_add_f64_e32 v[158:159], v[90:91], v[86:87]
	;; [unrolled: 1-line block ×6, first 2 shown]
	v_add_f64_e64 v[138:139], v[138:139], -v[142:143]
	v_add_f64_e64 v[140:141], v[140:141], -v[106:107]
	v_add_f64_e32 v[178:179], v[178:179], v[58:59]
	v_add_f64_e32 v[176:177], v[176:177], v[48:49]
	v_add_f64_e64 v[34:35], v[34:35], -v[2:3]
	v_add_f64_e64 v[32:33], v[32:33], -v[4:5]
	v_add_f64_e32 v[60:61], v[170:171], v[174:175]
	v_add_f64_e32 v[154:155], v[195:196], v[197:198]
	v_add_f64_e64 v[195:196], v[58:59], -v[28:29]
	v_add_f64_e64 v[58:59], v[58:59], -v[62:63]
	v_add_f64_e64 v[28:29], v[28:29], -v[10:11]
	v_add_f64_e32 v[170:171], v[239:240], v[241:242]
	v_add_f64_e32 v[174:175], v[243:244], v[245:246]
	;; [unrolled: 1-line block ×3, first 2 shown]
	v_add_f64_e64 v[199:200], v[62:63], -v[10:11]
	v_add_f64_e32 v[201:202], v[203:204], v[205:206]
	v_add_f64_e64 v[203:204], v[70:71], -v[52:53]
	v_add_f64_e32 v[80:81], v[231:232], v[233:234]
	v_add_f64_e32 v[205:206], v[207:208], v[209:210]
	v_add_f64_e64 v[207:208], v[68:69], -v[8:9]
	v_add_f64_e32 v[76:77], v[235:236], v[237:238]
	s_barrier_wait -1
	global_inv scope:SCOPE_SE
	v_add_f64_e32 v[209:210], v[211:212], v[213:214]
	v_add_f64_e64 v[211:212], v[72:73], -v[54:55]
	v_add_f64_e32 v[213:214], v[217:218], v[221:222]
	v_add_f64_e64 v[217:218], v[66:67], -v[6:7]
	;; [unrolled: 2-line block ×4, first 2 shown]
	v_fma_f64 v[158:159], v[158:159], -0.5, v[98:99]
	v_add_f64_e64 v[48:49], v[48:49], -v[40:41]
	v_fma_f64 v[160:161], v[160:161], -0.5, v[98:99]
	v_add_f64_e32 v[98:99], v[98:99], v[36:37]
	v_add_f64_e32 v[142:143], v[164:165], v[142:143]
	;; [unrolled: 1-line block ×6, first 2 shown]
	v_fma_f64 v[178:179], v[110:111], s[14:15], v[172:173]
	v_fma_f64 v[172:173], v[110:111], s[12:13], v[172:173]
	v_add_f64_e32 v[40:41], v[176:177], v[40:41]
	v_add_f64_e32 v[30:31], v[118:119], v[30:31]
	;; [unrolled: 1-line block ×3, first 2 shown]
	v_add_f64_e64 v[36:37], v[36:37], -v[20:21]
	v_add_f64_e64 v[24:25], v[24:25], -v[0:1]
	v_add_f64_e32 v[195:196], v[195:196], v[199:200]
	v_add_f64_e32 v[199:200], v[114:115], v[120:121]
	;; [unrolled: 1-line block ×9, first 2 shown]
	v_add_f64_e64 v[90:91], v[90:91], -v[86:87]
	v_fma_f64 v[164:165], v[164:165], -0.5, v[78:79]
	v_add_f64_e32 v[106:107], v[106:107], v[2:3]
	v_fma_f64 v[166:167], v[166:167], -0.5, v[78:79]
	v_add_f64_e32 v[78:79], v[78:79], v[52:53]
	v_add_f64_e64 v[52:53], v[52:53], -v[8:9]
	v_fma_f64 v[178:179], v[14:15], s[6:7], v[178:179]
	v_add_f64_e32 v[142:143], v[142:143], v[4:5]
	v_add_f64_e32 v[62:63], v[62:63], v[10:11]
	v_fma_f64 v[10:11], v[24:25], s[12:13], v[84:85]
	v_fma_f64 v[84:85], v[24:25], s[14:15], v[84:85]
	v_fma_f64 v[199:200], v[199:200], -0.5, v[46:47]
	v_fma_f64 v[207:208], v[207:208], -0.5, v[50:51]
	;; [unrolled: 1-line block ×3, first 2 shown]
	v_add_f64_e32 v[50:51], v[50:51], v[38:39]
	v_add_f64_e64 v[38:39], v[38:39], -v[22:23]
	v_fma_f64 v[227:228], v[227:228], -0.5, v[46:47]
	v_add_f64_e32 v[46:47], v[46:47], v[42:43]
	v_add_f64_e64 v[42:43], v[42:43], -v[18:19]
	v_add_f64_e32 v[86:87], v[98:99], v[86:87]
	v_add_f64_e32 v[98:99], v[72:73], v[66:67]
	;; [unrolled: 1-line block ×3, first 2 shown]
	v_add_f64_e64 v[70:71], v[70:71], -v[68:69]
	v_add_f64_e32 v[50:51], v[50:51], v[112:113]
	v_add_f64_e64 v[112:113], v[112:113], -v[122:123]
	v_fma_f64 v[118:119], v[38:39], s[14:15], v[199:200]
	v_fma_f64 v[199:200], v[38:39], s[12:13], v[199:200]
	v_add_f64_e32 v[46:47], v[46:47], v[114:115]
	v_add_f64_e64 v[114:115], v[114:115], -v[120:121]
	v_fma_f64 v[176:177], v[42:43], s[12:13], v[207:208]
	v_fma_f64 v[98:99], v[98:99], -0.5, v[74:75]
	v_fma_f64 v[207:208], v[42:43], s[14:15], v[207:208]
	v_add_f64_e32 v[86:87], v[86:87], v[20:21]
	v_add_f64_e32 v[68:69], v[78:79], v[68:69]
	v_fma_f64 v[78:79], v[108:109], s[12:13], v[168:169]
	v_fma_f64 v[168:169], v[108:109], s[14:15], v[168:169]
	v_add_f64_e32 v[50:51], v[50:51], v[122:123]
	v_add_f64_e32 v[122:123], v[92:93], v[82:83]
	v_fma_f64 v[116:117], v[112:113], s[12:13], v[227:228]
	;; [unrolled: 4-line block ×3, first 2 shown]
	v_fma_f64 v[176:177], v[114:115], s[6:7], v[176:177]
	v_fma_f64 v[112:113], v[112:113], s[6:7], v[199:200]
	v_add_f64_e32 v[68:69], v[68:69], v[8:9]
	v_fma_f64 v[78:79], v[12:13], s[10:11], v[78:79]
	v_add_f64_e32 v[22:23], v[50:51], v[22:23]
	v_fma_f64 v[122:123], v[122:123], -0.5, v[94:95]
	v_fma_f64 v[50:51], v[14:15], s[12:13], v[162:163]
	v_fma_f64 v[162:163], v[14:15], s[14:15], v[162:163]
	v_add_f64_e32 v[18:19], v[46:47], v[18:19]
	v_fma_f64 v[120:121], v[120:121], -0.5, v[94:95]
	v_add_f64_e32 v[94:95], v[94:95], v[44:45]
	v_add_f64_e64 v[44:45], v[44:45], -v[16:17]
	v_fma_f64 v[46:47], v[12:13], s[14:15], v[156:157]
	v_fma_f64 v[156:157], v[12:13], s[12:13], v[156:157]
	;; [unrolled: 1-line block ×19, first 2 shown]
	v_add_f64_e32 v[94:95], v[94:95], v[92:93]
	v_add_f64_e64 v[92:93], v[92:93], -v[82:83]
	v_fma_f64 v[162:163], v[44:45], s[12:13], v[158:159]
	v_fma_f64 v[46:47], v[108:109], s[10:11], v[46:47]
	;; [unrolled: 1-line block ×16, first 2 shown]
	v_add_f64_e32 v[82:83], v[94:95], v[82:83]
	v_add_f64_e32 v[94:95], v[54:55], v[6:7]
	v_fma_f64 v[152:153], v[92:93], s[6:7], v[162:163]
	v_fma_f64 v[156:157], v[36:37], s[10:11], v[156:157]
	;; [unrolled: 1-line block ×7, first 2 shown]
	v_mul_f64_e32 v[10:11], s[12:13], v[116:117]
	v_fma_f64 v[162:163], v[28:29], s[10:11], v[219:220]
	v_fma_f64 v[100:101], v[28:29], s[6:7], v[100:101]
	v_mul_f64_e32 v[28:29], s[16:17], v[112:113]
	v_fma_f64 v[58:59], v[58:59], s[6:7], v[88:89]
	v_fma_f64 v[102:103], v[76:77], s[2:3], v[102:103]
	v_add_f64_e32 v[82:83], v[82:83], v[16:17]
	v_fma_f64 v[94:95], v[94:95], -0.5, v[74:75]
	v_add_f64_e32 v[74:75], v[74:75], v[54:55]
	v_add_f64_e64 v[54:55], v[54:55], -v[6:7]
	v_fma_f64 v[16:17], v[52:53], s[14:15], v[98:99]
	v_fma_f64 v[98:99], v[52:53], s[12:13], v[98:99]
	v_fma_f64 v[88:89], v[170:171], s[2:3], v[152:153]
	v_fma_f64 v[152:153], v[205:206], s[2:3], v[36:37]
	v_fma_f64 v[120:121], v[80:81], s[2:3], v[120:121]
	v_fma_f64 v[20:21], v[70:71], s[12:13], v[94:95]
	v_add_f64_e32 v[74:75], v[74:75], v[72:73]
	v_add_f64_e64 v[72:73], v[72:73], -v[66:67]
	v_fma_f64 v[2:3], v[54:55], s[12:13], v[164:165]
	v_fma_f64 v[94:95], v[70:71], s[14:15], v[94:95]
	;; [unrolled: 1-line block ×5, first 2 shown]
	v_mul_f64_e32 v[98:99], s[10:11], v[176:177]
	v_fma_f64 v[20:21], v[52:53], s[10:11], v[20:21]
	v_add_f64_e32 v[66:67], v[74:75], v[66:67]
	v_fma_f64 v[74:75], v[114:115], s[14:15], v[217:218]
	v_fma_f64 v[217:218], v[114:115], s[12:13], v[217:218]
	;; [unrolled: 1-line block ×9, first 2 shown]
	v_mul_f64_e32 v[94:95], s[6:7], v[118:119]
	v_fma_f64 v[70:71], v[225:226], s[2:3], v[70:71]
	v_add_f64_e32 v[66:67], v[66:67], v[6:7]
	v_fma_f64 v[74:75], v[42:43], s[6:7], v[74:75]
	v_fma_f64 v[42:43], v[42:43], s[10:11], v[217:218]
	;; [unrolled: 1-line block ×8, first 2 shown]
	v_add_f64_e32 v[138:139], v[40:41], v[0:1]
	v_fma_f64 v[40:41], v[54:55], s[6:7], v[4:5]
	v_fma_f64 v[54:55], v[54:55], s[10:11], v[166:167]
	;; [unrolled: 1-line block ×3, first 2 shown]
	v_mul_f64_e32 v[166:167], s[2:3], v[38:39]
	v_fma_f64 v[92:93], v[170:171], s[2:3], v[92:93]
	v_add_f64_e32 v[2:3], v[26:27], v[18:19]
	v_add_f64_e64 v[6:7], v[26:27], -v[18:19]
	v_fma_f64 v[18:19], v[56:57], s[2:3], v[50:51]
	v_fma_f64 v[50:51], v[225:226], s[2:3], v[16:17]
	;; [unrolled: 1-line block ×5, first 2 shown]
	v_add_f64_e32 v[0:1], v[30:31], v[22:23]
	v_add_f64_e64 v[4:5], v[30:31], -v[22:23]
	v_fma_f64 v[20:21], v[176:177], s[16:17], v[94:95]
	v_fma_f64 v[22:23], v[118:119], s[16:17], v[98:99]
	;; [unrolled: 1-line block ×26, first 2 shown]
	v_fma_f64 v[98:99], v[114:115], s[10:11], -v[28:29]
	v_fma_f64 v[156:157], v[80:81], s[2:3], v[8:9]
	v_fma_f64 v[80:81], v[76:77], s[2:3], v[140:141]
	v_mul_f64_e32 v[140:141], s[6:7], v[50:51]
	v_mul_f64_e32 v[76:77], s[12:13], v[46:47]
	;; [unrolled: 1-line block ×3, first 2 shown]
	v_add_f64_e32 v[8:9], v[18:19], v[20:21]
	v_add_f64_e64 v[12:13], v[18:19], -v[20:21]
	v_add_f64_e64 v[14:15], v[16:17], -v[22:23]
	v_mul_f64_e32 v[158:159], s[14:15], v[74:75]
	v_mul_f64_e32 v[164:165], s[2:3], v[42:43]
	v_fma_f64 v[160:161], v[24:25], s[6:7], v[215:216]
	v_fma_f64 v[96:97], v[24:25], s[10:11], v[96:97]
	v_mul_f64_e32 v[24:25], s[16:17], v[114:115]
	v_fma_f64 v[36:37], v[74:75], s[2:3], v[10:11]
	v_fma_f64 v[144:145], v[201:202], s[2:3], v[144:145]
	;; [unrolled: 1-line block ×3, first 2 shown]
	v_fma_f64 v[42:43], v[42:43], s[14:15], -v[166:167]
	v_mul_f64_e32 v[110:111], s[6:7], v[84:85]
	v_mul_f64_e32 v[114:115], s[12:13], v[148:149]
	;; [unrolled: 1-line block ×7, first 2 shown]
	v_fma_f64 v[118:119], v[197:198], s[2:3], v[217:218]
	v_fma_f64 v[154:155], v[197:198], s[2:3], v[32:33]
	v_mul_f64_e32 v[178:179], s[16:17], v[72:73]
	v_mul_f64_e32 v[197:198], s[16:17], v[70:71]
	v_add_f64_e32 v[10:11], v[16:17], v[22:23]
	v_add_f64_e32 v[34:35], v[60:61], v[98:99]
	v_fma_f64 v[74:75], v[116:117], s[2:3], v[158:159]
	v_fma_f64 v[38:39], v[38:39], s[12:13], -v[164:165]
	v_mul_f64_e32 v[164:165], s[2:3], v[152:153]
	v_fma_f64 v[94:95], v[112:113], s[6:7], -v[24:25]
	v_mul_f64_e32 v[112:113], s[10:11], v[88:89]
	v_mul_f64_e32 v[116:117], s[14:15], v[144:145]
	;; [unrolled: 1-line block ×3, first 2 shown]
	v_add_f64_e32 v[16:17], v[26:27], v[36:37]
	v_add_f64_e64 v[20:21], v[26:27], -v[36:37]
	v_add_f64_e32 v[26:27], v[78:79], v[42:43]
	v_fma_f64 v[90:91], v[90:91], s[6:7], -v[166:167]
	v_fma_f64 v[92:93], v[92:93], s[10:11], -v[168:169]
	v_add_f64_e32 v[18:19], v[30:31], v[74:75]
	v_add_f64_e64 v[22:23], v[30:31], -v[74:75]
	v_add_f64_e32 v[24:25], v[64:65], v[38:39]
	v_add_f64_e64 v[28:29], v[64:65], -v[38:39]
	v_add_f64_e64 v[30:31], v[78:79], -v[42:43]
	;; [unrolled: 1-line block ×3, first 2 shown]
	v_fma_f64 v[60:61], v[88:89], s[16:17], v[110:111]
	v_fma_f64 v[64:65], v[84:85], s[16:17], v[112:113]
	v_fma_f64 v[74:75], v[144:145], s[2:3], v[114:115]
	v_fma_f64 v[78:79], v[148:149], s[2:3], v[116:117]
	v_fma_f64 v[84:85], v[152:153], s[12:13], -v[158:159]
	v_fma_f64 v[88:89], v[44:45], s[14:15], -v[164:165]
	v_add_f64_e32 v[32:33], v[56:57], v[94:95]
	v_add_f64_e64 v[36:37], v[56:57], -v[94:95]
	v_fma_f64 v[94:95], v[122:123], s[16:17], v[140:141]
	v_fma_f64 v[98:99], v[50:51], s[16:17], v[170:171]
	;; [unrolled: 1-line block ×10, first 2 shown]
	v_fma_f64 v[148:149], v[52:53], s[12:13], -v[174:175]
	v_fma_f64 v[150:151], v[54:55], s[14:15], -v[176:177]
	v_fma_f64 v[152:153], v[209:210], s[2:3], v[48:49]
	v_fma_f64 v[158:159], v[213:214], s[2:3], v[58:59]
	v_fma_f64 v[160:161], v[70:71], s[6:7], -v[178:179]
	v_fma_f64 v[162:163], v[72:73], s[10:11], -v[197:198]
	v_lshlrev_b32_e32 v42, 4, v191
	s_wait_alu 0xf1ff
	v_cndmask_b32_e64 v43, 0, 0x2ee0, s0
	v_add_f64_e32 v[48:49], v[62:63], v[68:69]
	v_add_f64_e32 v[50:51], v[138:139], v[66:67]
	v_add_f64_e64 v[52:53], v[62:63], -v[68:69]
	v_add_f64_e64 v[54:55], v[138:139], -v[66:67]
	v_add3_u32 v164, 0, v43, v42
	v_add_f64_e32 v[40:41], v[142:143], v[86:87]
	v_add_f64_e32 v[42:43], v[106:107], v[82:83]
	v_add_f64_e64 v[46:47], v[106:107], -v[82:83]
	v_add_f64_e32 v[82:83], v[102:103], v[92:93]
	v_add_f64_e64 v[44:45], v[142:143], -v[86:87]
	v_add_f64_e64 v[86:87], v[102:103], -v[92:93]
	ds_store_b128 v164, v[0:3]
	ds_store_b128 v164, v[8:11] offset:1200
	v_add_f64_e32 v[56:57], v[156:157], v[60:61]
	v_add_f64_e32 v[58:59], v[80:81], v[64:65]
	v_add_f64_e64 v[60:61], v[156:157], -v[60:61]
	v_add_f64_e64 v[62:63], v[80:81], -v[64:65]
	v_add_f64_e32 v[64:65], v[104:105], v[74:75]
	v_add_f64_e32 v[66:67], v[118:119], v[78:79]
	v_add_f64_e64 v[68:69], v[104:105], -v[74:75]
	v_add_f64_e64 v[70:71], v[118:119], -v[78:79]
	;; [unrolled: 4-line block ×3, first 2 shown]
	v_add_f64_e32 v[80:81], v[120:121], v[90:91]
	v_add_f64_e64 v[84:85], v[120:121], -v[90:91]
	v_add_f64_e32 v[88:89], v[110:111], v[94:95]
	v_add_f64_e32 v[90:91], v[112:113], v[98:99]
	v_add_f64_e64 v[92:93], v[110:111], -v[94:95]
	v_add_f64_e64 v[94:95], v[112:113], -v[98:99]
	v_add_f64_e32 v[96:97], v[122:123], v[114:115]
	v_add_f64_e32 v[98:99], v[140:141], v[116:117]
	v_add_f64_e64 v[100:101], v[122:123], -v[114:115]
	v_add_f64_e32 v[104:105], v[144:145], v[148:149]
	v_add_f64_e32 v[106:107], v[146:147], v[150:151]
	;; [unrolled: 3-line block ×3, first 2 shown]
	v_add_f64_e64 v[112:113], v[144:145], -v[148:149]
	v_add_f64_e64 v[114:115], v[146:147], -v[150:151]
	;; [unrolled: 1-line block ×4, first 2 shown]
	v_and_b32_e32 v120, 0xffff, v193
	v_lshlrev_b32_e32 v1, 4, v194
	v_lshlrev_b32_e32 v2, 4, v192
	ds_store_b128 v164, v[16:19] offset:2400
	ds_store_b128 v164, v[24:27] offset:3600
	;; [unrolled: 1-line block ×6, first 2 shown]
	v_mul_u32_u24_e32 v0, 0x2ee0, v120
	s_delay_alu instid0(VALU_DEP_1)
	v_add3_u32 v0, 0, v0, v1
	v_and_b32_e32 v1, 0xffff, v136
	v_lshlrev_b32_e32 v136, 2, v124
	ds_store_b128 v164, v[28:31] offset:9600
	ds_store_b128 v164, v[36:39] offset:10800
	ds_store_b128 v0, v[40:43]
	ds_store_b128 v0, v[56:59] offset:1200
	ds_store_b128 v0, v[64:67] offset:2400
	;; [unrolled: 1-line block ×5, first 2 shown]
	v_mul_u32_u24_e32 v1, 0x2ee0, v1
	s_delay_alu instid0(VALU_DEP_1)
	v_add3_u32 v2, 0, v1, v2
	ds_store_b128 v0, v[60:63] offset:7200
	ds_store_b128 v0, v[68:71] offset:8400
	;; [unrolled: 1-line block ×4, first 2 shown]
	ds_store_b128 v2, v[48:51]
	ds_store_b128 v2, v[88:91] offset:1200
	v_lshlrev_b64_e32 v[0:1], 4, v[136:137]
	ds_store_b128 v2, v[96:99] offset:2400
	ds_store_b128 v2, v[104:107] offset:3600
	;; [unrolled: 1-line block ×4, first 2 shown]
	v_add_co_u32 v4, s0, s4, v0
	s_wait_alu 0xf1ff
	v_add_co_ci_u32_e64 v5, s0, s5, v1, s0
	ds_store_b128 v2, v[92:95] offset:7200
	ds_store_b128 v2, v[100:103] offset:8400
	;; [unrolled: 1-line block ×4, first 2 shown]
	global_wb scope:SCOPE_SE
	s_wait_dscnt 0x0
	s_barrier_signal -1
	s_barrier_wait -1
	global_inv scope:SCOPE_SE
	s_clause 0x1
	global_load_b128 v[0:3], v[4:5], off offset:11952
	global_load_b128 v[8:11], v[4:5], off offset:11968
	v_lshlrev_b32_e32 v136, 2, v129
	s_clause 0x1
	global_load_b128 v[12:15], v[4:5], off offset:11984
	global_load_b128 v[4:7], v[4:5], off offset:12000
	v_lshlrev_b64_e32 v[16:17], 4, v[136:137]
	v_lshlrev_b32_e32 v136, 2, v135
	s_delay_alu instid0(VALU_DEP_2) | instskip(SKIP_1) | instid1(VALU_DEP_3)
	v_add_co_u32 v24, s0, s4, v16
	s_wait_alu 0xf1ff
	v_add_co_ci_u32_e64 v25, s0, s5, v17, s0
	s_clause 0x1
	global_load_b128 v[20:23], v[24:25], off offset:11952
	global_load_b128 v[16:19], v[24:25], off offset:11968
	v_lshlrev_b64_e32 v[32:33], 4, v[136:137]
	s_clause 0x1
	global_load_b128 v[28:31], v[24:25], off offset:11984
	global_load_b128 v[24:27], v[24:25], off offset:12000
	v_lshlrev_b32_e32 v136, 2, v134
	v_add_co_u32 v40, s0, s4, v32
	s_wait_alu 0xf1ff
	v_add_co_ci_u32_e64 v41, s0, s5, v33, s0
	s_clause 0x3
	global_load_b128 v[36:39], v[40:41], off offset:11952
	global_load_b128 v[32:35], v[40:41], off offset:11968
	;; [unrolled: 1-line block ×4, first 2 shown]
	v_lshlrev_b64_e32 v[48:49], 4, v[136:137]
	v_lshlrev_b32_e32 v136, 2, v133
	s_delay_alu instid0(VALU_DEP_1) | instskip(SKIP_1) | instid1(VALU_DEP_4)
	v_lshlrev_b64_e32 v[62:63], 4, v[136:137]
	v_lshlrev_b32_e32 v136, 2, v132
	v_add_co_u32 v60, s0, s4, v48
	s_wait_alu 0xf1ff
	v_add_co_ci_u32_e64 v61, s0, s5, v49, s0
	s_delay_alu instid0(VALU_DEP_3)
	v_lshlrev_b64_e32 v[70:71], 4, v[136:137]
	v_add_co_u32 v68, s0, s4, v62
	s_wait_alu 0xf1ff
	v_add_co_ci_u32_e64 v69, s0, s5, v63, s0
	s_clause 0x2
	global_load_b128 v[56:59], v[60:61], off offset:11952
	global_load_b128 v[52:55], v[60:61], off offset:11968
	;; [unrolled: 1-line block ×3, first 2 shown]
	v_add_co_u32 v92, s0, s4, v70
	s_wait_alu 0xf1ff
	v_add_co_ci_u32_e64 v93, s0, s5, v71, s0
	s_clause 0x8
	global_load_b128 v[60:63], v[60:61], off offset:12000
	global_load_b128 v[76:79], v[68:69], off offset:11952
	;; [unrolled: 1-line block ×9, first 2 shown]
	ds_load_b128 v[112:115], v189
	ds_load_b128 v[108:111], v180 offset:24000
	ds_load_b128 v[104:107], v180 offset:36000
	;; [unrolled: 1-line block ×4, first 2 shown]
	ds_load_b128 v[116:119], v188
	ds_load_b128 v[120:123], v180 offset:26000
	ds_load_b128 v[138:141], v180 offset:38000
	;; [unrolled: 1-line block ×12, first 2 shown]
	s_wait_loadcnt_dscnt 0x1711
	v_mul_f64_e32 v[178:179], v[114:115], v[2:3]
	v_mul_f64_e32 v[2:3], v[112:113], v[2:3]
	s_wait_loadcnt_dscnt 0x1610
	v_mul_f64_e32 v[195:196], v[110:111], v[10:11]
	s_wait_loadcnt_dscnt 0x140e
	v_mul_f64_e32 v[199:200], v[102:103], v[6:7]
	v_mul_f64_e32 v[201:202], v[100:101], v[6:7]
	;; [unrolled: 1-line block ×5, first 2 shown]
	s_wait_loadcnt_dscnt 0x130d
	v_mul_f64_e32 v[203:204], v[98:99], v[22:23]
	v_mul_f64_e32 v[22:23], v[96:97], v[22:23]
	s_wait_loadcnt_dscnt 0x120b
	v_mul_f64_e32 v[205:206], v[122:123], v[18:19]
	v_mul_f64_e32 v[18:19], v[120:121], v[18:19]
	;; [unrolled: 3-line block ×5, first 2 shown]
	s_wait_loadcnt 0xd
	v_mul_f64_e32 v[217:218], v[168:169], v[46:47]
	s_wait_dscnt 0x3
	v_mul_f64_e32 v[215:216], v[164:165], v[34:35]
	v_mul_f64_e32 v[34:35], v[162:163], v[34:35]
	v_fma_f64 v[178:179], v[112:113], v[0:1], -v[178:179]
	v_fma_f64 v[211:212], v[114:115], v[0:1], v[2:3]
	ds_load_b128 v[0:3], v180 offset:30000
	ds_load_b128 v[112:115], v180 offset:32000
	v_fma_f64 v[199:200], v[100:101], v[4:5], -v[199:200]
	v_fma_f64 v[201:202], v[102:103], v[4:5], v[201:202]
	v_mul_f64_e32 v[4:5], v[166:167], v[46:47]
	s_wait_loadcnt_dscnt 0xc04
	v_mul_f64_e32 v[46:47], v[172:173], v[42:43]
	v_fma_f64 v[108:109], v[108:109], v[8:9], -v[195:196]
	v_fma_f64 v[110:111], v[110:111], v[8:9], v[10:11]
	v_fma_f64 v[195:196], v[104:105], v[12:13], -v[197:198]
	v_fma_f64 v[197:198], v[106:107], v[12:13], v[14:15]
	ds_load_b128 v[6:9], v180 offset:42000
	ds_load_b128 v[10:13], v180 offset:44000
	;; [unrolled: 1-line block ×4, first 2 shown]
	v_fma_f64 v[96:97], v[96:97], v[20:21], -v[203:204]
	v_fma_f64 v[98:99], v[98:99], v[20:21], v[22:23]
	v_mul_f64_e32 v[22:23], v[170:171], v[42:43]
	v_fma_f64 v[42:43], v[120:121], v[16:17], -v[205:206]
	v_fma_f64 v[120:121], v[122:123], v[16:17], v[18:19]
	ds_load_b128 v[14:17], v180 offset:58000
	ds_load_b128 v[18:21], v180
	s_wait_loadcnt_dscnt 0xb09
	v_mul_f64_e32 v[122:123], v[176:177], v[58:59]
	v_mul_f64_e32 v[58:59], v[174:175], v[58:59]
	s_wait_loadcnt_dscnt 0xa07
	v_mul_f64_e32 v[203:204], v[2:3], v[54:55]
	v_fma_f64 v[138:139], v[138:139], v[28:29], -v[207:208]
	v_fma_f64 v[140:141], v[140:141], v[28:29], v[30:31]
	v_mul_f64_e32 v[30:31], v[0:1], v[54:55]
	s_wait_loadcnt_dscnt 0x905
	v_mul_f64_e32 v[54:55], v[8:9], v[50:51]
	v_mul_f64_e32 v[50:51], v[6:7], v[50:51]
	s_wait_loadcnt_dscnt 0x803
	v_mul_f64_e32 v[205:206], v[106:107], v[62:63]
	v_fma_f64 v[154:155], v[154:155], v[24:25], -v[209:210]
	v_fma_f64 v[166:167], v[166:167], v[44:45], -v[217:218]
	v_mul_f64_e32 v[62:63], v[104:105], v[62:63]
	s_wait_loadcnt 0x7
	v_mul_f64_e32 v[207:208], v[193:194], v[78:79]
	v_mul_f64_e32 v[78:79], v[191:192], v[78:79]
	s_wait_loadcnt 0x6
	v_mul_f64_e32 v[209:210], v[114:115], v[74:75]
	v_fma_f64 v[158:159], v[158:159], v[36:37], -v[213:214]
	v_fma_f64 v[36:37], v[160:161], v[36:37], v[38:39]
	v_mul_f64_e32 v[38:39], v[112:113], v[74:75]
	v_fma_f64 v[44:45], v[168:169], v[44:45], v[4:5]
	s_wait_dscnt 0x0
	v_add_f64_e32 v[4:5], v[18:19], v[178:179]
	s_wait_loadcnt 0x5
	v_mul_f64_e32 v[74:75], v[12:13], v[66:67]
	v_mul_f64_e32 v[66:67], v[10:11], v[66:67]
	s_wait_loadcnt 0x4
	v_mul_f64_e32 v[160:161], v[102:103], v[70:71]
	v_fma_f64 v[162:163], v[162:163], v[32:33], -v[215:216]
	v_fma_f64 v[34:35], v[164:165], v[32:33], v[34:35]
	v_mul_f64_e32 v[70:71], v[100:101], v[70:71]
	s_wait_loadcnt 0x3
	v_mul_f64_e32 v[164:165], v[144:145], v[82:83]
	s_wait_loadcnt 0x2
	v_mul_f64_e32 v[213:214], v[148:149], v[86:87]
	v_add_f64_e32 v[168:169], v[20:21], v[211:212]
	v_mul_f64_e32 v[86:87], v[146:147], v[86:87]
	s_wait_loadcnt 0x1
	v_mul_f64_e32 v[215:216], v[152:153], v[90:91]
	v_fma_f64 v[46:47], v[170:171], v[40:41], -v[46:47]
	v_mul_f64_e32 v[90:91], v[150:151], v[90:91]
	s_wait_loadcnt 0x0
	v_mul_f64_e32 v[170:171], v[16:17], v[94:95]
	v_fma_f64 v[156:157], v[156:157], v[24:25], v[26:27]
	v_fma_f64 v[40:41], v[172:173], v[40:41], v[22:23]
	v_mul_f64_e32 v[94:95], v[14:15], v[94:95]
	v_mul_f64_e32 v[82:83], v[142:143], v[82:83]
	v_fma_f64 v[122:123], v[174:175], v[56:57], -v[122:123]
	v_fma_f64 v[56:57], v[176:177], v[56:57], v[58:59]
	v_fma_f64 v[58:59], v[0:1], v[52:53], -v[203:204]
	ds_load_b128 v[22:25], v186
	ds_load_b128 v[26:29], v185
	v_add_f64_e64 v[174:175], v[195:196], -v[199:200]
	v_fma_f64 v[52:53], v[2:3], v[52:53], v[30:31]
	v_fma_f64 v[54:55], v[6:7], v[48:49], -v[54:55]
	v_fma_f64 v[48:49], v[8:9], v[48:49], v[50:51]
	v_fma_f64 v[50:51], v[104:105], v[60:61], -v[205:206]
	v_add_f64_e32 v[104:105], v[120:121], v[140:141]
	v_add_f64_e64 v[176:177], v[197:198], -v[201:202]
	v_fma_f64 v[60:61], v[106:107], v[60:61], v[62:63]
	v_fma_f64 v[8:9], v[191:192], v[76:77], -v[207:208]
	v_fma_f64 v[62:63], v[193:194], v[76:77], v[78:79]
	v_fma_f64 v[76:77], v[112:113], v[72:73], -v[209:210]
	ds_load_b128 v[0:3], v184
	ds_load_b128 v[30:33], v183
	v_add_f64_e64 v[193:194], v[98:99], -v[120:121]
	v_fma_f64 v[38:39], v[114:115], v[72:73], v[38:39]
	v_add_f64_e32 v[114:115], v[96:97], v[154:155]
	v_add_f64_e32 v[4:5], v[4:5], v[108:109]
	v_fma_f64 v[72:73], v[10:11], v[64:65], -v[74:75]
	v_fma_f64 v[12:13], v[12:13], v[64:65], v[66:67]
	v_fma_f64 v[100:101], v[100:101], v[68:69], -v[160:161]
	s_wait_dscnt 0x3
	v_add_f64_e32 v[78:79], v[22:23], v[96:97]
	v_add_f64_e64 v[160:161], v[108:109], -v[178:179]
	v_fma_f64 v[102:103], v[102:103], v[68:69], v[70:71]
	v_fma_f64 v[64:65], v[142:143], v[80:81], -v[164:165]
	v_fma_f64 v[66:67], v[146:147], v[84:85], -v[213:214]
	v_add_f64_e32 v[6:7], v[168:169], v[110:111]
	v_fma_f64 v[68:69], v[148:149], v[84:85], v[86:87]
	v_fma_f64 v[70:71], v[150:151], v[88:89], -v[215:216]
	v_add_f64_e32 v[164:165], v[162:163], v[166:167]
	v_fma_f64 v[74:75], v[152:153], v[88:89], v[90:91]
	v_fma_f64 v[106:107], v[14:15], v[92:93], -v[170:171]
	v_add_f64_e32 v[142:143], v[98:99], v[156:157]
	v_add_f64_e32 v[168:169], v[34:35], v[44:45]
	;; [unrolled: 1-line block ×4, first 2 shown]
	v_fma_f64 v[112:113], v[16:17], v[92:93], v[94:95]
	v_add_f64_e32 v[14:15], v[108:109], v[195:196]
	v_add_f64_e32 v[16:17], v[110:111], v[197:198]
	;; [unrolled: 1-line block ×5, first 2 shown]
	v_fma_f64 v[10:11], v[144:145], v[80:81], v[82:83]
	v_add_f64_e32 v[80:81], v[24:25], v[98:99]
	v_add_f64_e64 v[82:83], v[211:212], -v[201:202]
	s_wait_dscnt 0x2
	v_add_f64_e32 v[90:91], v[26:27], v[158:159]
	v_add_f64_e32 v[92:93], v[28:29], v[36:37]
	v_add_f64_e64 v[144:145], v[178:179], -v[108:109]
	v_add_f64_e64 v[146:147], v[199:200], -v[195:196]
	;; [unrolled: 1-line block ×7, first 2 shown]
	v_add_f64_e32 v[203:204], v[122:123], v[50:51]
	v_add_f64_e32 v[4:5], v[4:5], v[195:196]
	;; [unrolled: 1-line block ×6, first 2 shown]
	v_add_f64_e64 v[84:85], v[178:179], -v[199:200]
	v_add_f64_e32 v[217:218], v[62:63], v[102:103]
	v_add_f64_e64 v[207:208], v[156:157], -v[140:141]
	v_add_f64_e64 v[209:210], v[42:43], -v[96:97]
	v_add_f64_e32 v[6:7], v[6:7], v[197:198]
	v_add_f64_e32 v[197:198], v[52:53], v[48:49]
	;; [unrolled: 1-line block ×3, first 2 shown]
	v_add_f64_e64 v[219:220], v[138:139], -v[154:155]
	v_add_f64_e32 v[229:230], v[68:69], v[74:75]
	v_add_f64_e32 v[223:224], v[64:65], v[106:107]
	v_fma_f64 v[104:105], v[104:105], -0.5, v[24:25]
	v_fma_f64 v[24:25], v[142:143], -0.5, v[24:25]
	v_add_f64_e64 v[142:143], v[162:163], -v[158:159]
	v_fma_f64 v[164:165], v[164:165], -0.5, v[26:27]
	v_fma_f64 v[168:169], v[168:169], -0.5, v[28:29]
	v_fma_f64 v[26:27], v[170:171], -0.5, v[26:27]
	v_fma_f64 v[28:29], v[172:173], -0.5, v[28:29]
	v_add_f64_e64 v[170:171], v[166:167], -v[46:47]
	v_add_f64_e64 v[172:173], v[36:37], -v[34:35]
	;; [unrolled: 1-line block ×5, first 2 shown]
	v_fma_f64 v[14:15], v[14:15], -0.5, v[18:19]
	v_fma_f64 v[16:17], v[16:17], -0.5, v[20:21]
	;; [unrolled: 1-line block ×4, first 2 shown]
	v_add_f64_e64 v[86:87], v[140:141], -v[156:157]
	v_add_f64_e64 v[88:89], v[158:159], -v[162:163]
	v_fma_f64 v[94:95], v[94:95], -0.5, v[22:23]
	v_fma_f64 v[22:23], v[114:115], -0.5, v[22:23]
	v_add_f64_e64 v[114:115], v[46:47], -v[166:167]
	v_add_f64_e32 v[213:214], v[38:39], v[12:13]
	s_wait_dscnt 0x1
	v_fma_f64 v[203:204], v[203:204], -0.5, v[0:1]
	v_add_f64_e32 v[4:5], v[4:5], v[199:200]
	v_add_f64_e64 v[199:200], v[40:41], -v[44:45]
	v_fma_f64 v[195:196], v[195:196], -0.5, v[0:1]
	v_fma_f64 v[205:206], v[205:206], -0.5, v[2:3]
	s_wait_dscnt 0x0
	v_fma_f64 v[211:212], v[211:212], -0.5, v[30:31]
	v_add_f64_e32 v[144:145], v[144:145], v[146:147]
	v_add_f64_e64 v[146:147], v[44:45], -v[40:41]
	v_add_f64_e32 v[148:149], v[148:149], v[150:151]
	v_add_f64_e64 v[150:151], v[122:123], -v[58:59]
	v_add_f64_e32 v[6:7], v[6:7], v[201:202]
	v_add_f64_e32 v[201:202], v[0:1], v[122:123]
	v_fma_f64 v[197:198], v[197:198], -0.5, v[2:3]
	v_add_f64_e32 v[0:1], v[2:3], v[56:57]
	v_add_f64_e32 v[2:3], v[30:31], v[8:9]
	v_fma_f64 v[30:31], v[215:216], -0.5, v[30:31]
	v_fma_f64 v[215:216], v[217:218], -0.5, v[32:33]
	v_add_f64_e32 v[217:218], v[116:117], v[64:65]
	v_fma_f64 v[223:224], v[223:224], -0.5, v[116:117]
	v_fma_f64 v[116:117], v[227:228], -0.5, v[116:117]
	;; [unrolled: 1-line block ×3, first 2 shown]
	v_add_f64_e64 v[229:230], v[34:35], -v[36:37]
	v_add_f64_e32 v[160:161], v[160:161], v[174:175]
	v_add_f64_e64 v[174:175], v[50:51], -v[54:55]
	v_add_f64_e32 v[78:79], v[78:79], v[42:43]
	v_add_f64_e32 v[80:81], v[80:81], v[120:121]
	;; [unrolled: 1-line block ×5, first 2 shown]
	v_add_f64_e64 v[207:208], v[52:53], -v[56:57]
	v_add_f64_e32 v[209:210], v[209:210], v[219:220]
	v_add_f64_e64 v[219:220], v[48:49], -v[60:61]
	v_add_f64_e32 v[142:143], v[142:143], v[170:171]
	v_add_f64_e64 v[170:171], v[100:101], -v[72:73]
	v_add_f64_e32 v[225:226], v[10:11], v[112:113]
	v_add_f64_e32 v[110:111], v[110:111], v[176:177]
	v_add_f64_e64 v[176:177], v[56:57], -v[52:53]
	v_add_f64_e32 v[178:179], v[178:179], v[191:192]
	v_add_f64_e64 v[191:192], v[60:61], -v[48:49]
	v_add_f64_e32 v[86:87], v[221:222], v[86:87]
	v_add_f64_e32 v[172:173], v[172:173], v[199:200]
	v_add_f64_e64 v[199:200], v[8:9], -v[76:77]
	v_add_f64_e64 v[221:222], v[58:59], -v[122:123]
	v_add_f64_e32 v[88:89], v[88:89], v[114:115]
	v_add_f64_e64 v[114:115], v[54:55], -v[50:51]
	v_fma_f64 v[213:214], v[213:214], -0.5, v[32:33]
	v_add_f64_e32 v[32:33], v[32:33], v[62:63]
	v_add_f64_e64 v[42:43], v[42:43], -v[138:139]
	v_add_f64_e64 v[120:121], v[120:121], -v[140:141]
	;; [unrolled: 1-line block ×7, first 2 shown]
	v_add_f64_e32 v[235:236], v[2:3], v[76:77]
	v_add_f64_e64 v[56:57], v[56:57], -v[60:61]
	v_add_f64_e32 v[231:232], v[0:1], v[52:53]
	v_add_f64_e64 v[52:53], v[52:53], -v[48:49]
	v_add_f64_e64 v[122:123], v[122:123], -v[50:51]
	v_add_f64_e32 v[146:147], v[229:230], v[146:147]
	v_add_f64_e64 v[229:230], v[62:63], -v[38:39]
	v_add_f64_e32 v[150:151], v[150:151], v[174:175]
	;; [unrolled: 2-line block ×7, first 2 shown]
	v_add_f64_e64 v[219:220], v[38:39], -v[62:63]
	v_fma_f64 v[225:226], v[225:226], -0.5, v[118:119]
	v_add_f64_e32 v[118:119], v[118:119], v[10:11]
	v_add_f64_e32 v[201:202], v[201:202], v[58:59]
	;; [unrolled: 1-line block ×3, first 2 shown]
	v_add_f64_e64 v[191:192], v[76:77], -v[8:9]
	v_add_f64_e64 v[36:37], v[36:37], -v[40:41]
	v_add_f64_e32 v[170:171], v[199:200], v[170:171]
	v_add_f64_e64 v[199:200], v[12:13], -v[102:103]
	v_add_f64_e64 v[58:59], v[58:59], -v[54:55]
	v_add_f64_e32 v[114:115], v[221:222], v[114:115]
	v_add_f64_e64 v[221:222], v[72:73], -v[100:101]
	v_add_f64_e32 v[32:33], v[32:33], v[38:39]
	v_add_f64_e64 v[237:238], v[10:11], -v[112:113]
	v_add_f64_e64 v[62:63], v[62:63], -v[102:103]
	;; [unrolled: 1-line block ×4, first 2 shown]
	global_wb scope:SCOPE_SE
	s_barrier_signal -1
	s_barrier_wait -1
	global_inv scope:SCOPE_SE
	v_add_f64_e32 v[48:49], v[231:232], v[48:49]
	v_add_f64_e32 v[174:175], v[229:230], v[174:175]
	v_add_f64_e64 v[229:230], v[38:39], -v[12:13]
	v_fma_f64 v[38:39], v[82:83], s[12:13], v[14:15]
	v_fma_f64 v[14:15], v[82:83], s[14:15], v[14:15]
	v_add_f64_e32 v[138:139], v[138:139], v[140:141]
	v_fma_f64 v[140:141], v[84:85], s[14:15], v[16:17]
	v_fma_f64 v[16:17], v[84:85], s[12:13], v[16:17]
	v_add_f64_e32 v[0:1], v[78:79], v[154:155]
	;; [unrolled: 3-line block ×4, first 2 shown]
	v_fma_f64 v[90:91], v[96:97], s[14:15], v[104:105]
	v_add_f64_e32 v[166:167], v[235:236], v[72:73]
	v_fma_f64 v[72:73], v[158:159], s[14:15], v[168:169]
	v_fma_f64 v[168:169], v[158:159], s[12:13], v[168:169]
	v_add_f64_e32 v[199:200], v[219:220], v[199:200]
	v_add_f64_e64 v[219:220], v[10:11], -v[68:69]
	v_add_f64_e32 v[10:11], v[44:45], v[40:41]
	v_fma_f64 v[40:41], v[98:99], s[12:13], v[94:95]
	v_fma_f64 v[44:45], v[98:99], s[14:15], v[94:95]
	;; [unrolled: 1-line block ×5, first 2 shown]
	v_add_f64_e32 v[191:192], v[191:192], v[221:222]
	v_add_f64_e64 v[221:222], v[68:69], -v[74:75]
	v_add_f64_e32 v[68:69], v[118:119], v[68:69]
	v_fma_f64 v[118:119], v[42:43], s[12:13], v[24:25]
	v_fma_f64 v[24:25], v[42:43], s[14:15], v[24:25]
	v_add_f64_e64 v[46:47], v[64:65], -v[66:67]
	v_add_f64_e64 v[64:65], v[64:65], -v[106:107]
	v_add_f64_e32 v[54:55], v[201:202], v[54:55]
	v_add_f64_e32 v[201:202], v[32:33], v[12:13]
	;; [unrolled: 1-line block ×3, first 2 shown]
	v_add_f64_e64 v[80:81], v[66:67], -v[70:71]
	v_fma_f64 v[156:157], v[36:37], s[12:13], v[164:165]
	v_fma_f64 v[12:13], v[34:35], s[14:15], v[26:27]
	;; [unrolled: 1-line block ×40, first 2 shown]
	v_add_f64_e32 v[66:67], v[217:218], v[66:67]
	v_fma_f64 v[247:248], v[221:222], s[14:15], v[223:224]
	v_fma_f64 v[223:224], v[221:222], s[12:13], v[223:224]
	v_add_f64_e64 v[205:206], v[106:107], -v[70:71]
	v_add_f64_e64 v[217:218], v[112:113], -v[74:75]
	v_fma_f64 v[152:153], v[52:53], s[10:11], v[152:153]
	v_fma_f64 v[249:250], v[52:53], s[6:7], v[16:17]
	;; [unrolled: 1-line block ×43, first 2 shown]
	v_add_f64_e32 v[140:141], v[66:67], v[70:71]
	v_add_f64_e32 v[160:161], v[68:69], v[74:75]
	v_fma_f64 v[12:13], v[144:145], s[2:3], v[32:33]
	v_fma_f64 v[32:33], v[178:179], s[2:3], v[44:45]
	v_add_f64_e32 v[144:145], v[46:47], v[205:206]
	v_fma_f64 v[148:149], v[221:222], s[6:7], v[58:59]
	v_add_f64_e32 v[168:169], v[219:220], v[217:218]
	v_fma_f64 v[178:179], v[80:81], s[10:11], v[56:57]
	v_fma_f64 v[118:119], v[64:65], s[10:11], v[52:53]
	;; [unrolled: 1-line block ×6, first 2 shown]
	v_add_f64_e32 v[46:47], v[48:49], v[60:61]
	v_add_f64_e32 v[44:45], v[54:55], v[50:51]
	v_fma_f64 v[48:49], v[88:89], s[2:3], v[156:157]
	v_fma_f64 v[50:51], v[172:173], s[2:3], v[72:73]
	;; [unrolled: 1-line block ×16, first 2 shown]
	v_add_f64_e32 v[88:89], v[166:167], v[100:101]
	v_add_f64_e32 v[90:91], v[201:202], v[102:103]
	v_fma_f64 v[80:81], v[170:171], s[2:3], v[94:95]
	v_fma_f64 v[82:83], v[174:175], s[2:3], v[82:83]
	;; [unrolled: 1-line block ×10, first 2 shown]
	v_add_f64_e32 v[108:109], v[140:141], v[106:107]
	v_add_f64_e32 v[110:111], v[160:161], v[112:113]
	v_fma_f64 v[112:113], v[144:145], s[2:3], v[148:149]
	v_fma_f64 v[114:115], v[168:169], s[2:3], v[178:179]
	;; [unrolled: 1-line block ×6, first 2 shown]
	ds_store_b128 v180, v[4:7]
	ds_store_b128 v180, v[12:15] offset:12000
	ds_store_b128 v180, v[20:23] offset:24000
	ds_store_b128 v180, v[24:27] offset:36000
	ds_store_b128 v180, v[16:19] offset:48000
	ds_store_b128 v186, v[0:3]
	ds_store_b128 v186, v[28:31] offset:12000
	ds_store_b128 v186, v[36:39] offset:24000
	ds_store_b128 v186, v[40:43] offset:36000
	ds_store_b128 v186, v[32:35] offset:48000
	;; [unrolled: 5-line block ×6, first 2 shown]
	global_wb scope:SCOPE_SE
	s_wait_dscnt 0x0
	s_barrier_signal -1
	s_barrier_wait -1
	global_inv scope:SCOPE_SE
	ds_load_b128 v[4:7], v180
	v_sub_nc_u32_e32 v12, 0, v125
                                        ; implicit-def: $vgpr2_vgpr3
                                        ; implicit-def: $vgpr10_vgpr11
                                        ; implicit-def: $vgpr8_vgpr9
	v_cmpx_ne_u32_e32 0, v124
	s_xor_b32 s1, exec_lo, s1
	s_cbranch_execz .LBB0_15
; %bb.14:
	v_mov_b32_e32 v125, v137
	s_delay_alu instid0(VALU_DEP_1) | instskip(NEXT) | instid1(VALU_DEP_1)
	v_lshlrev_b64_e32 v[0:1], 4, v[124:125]
	v_add_co_u32 v0, s0, s4, v0
	s_wait_alu 0xf1ff
	s_delay_alu instid0(VALU_DEP_2)
	v_add_co_ci_u32_e64 v1, s0, s5, v1, s0
	global_load_b128 v[8:11], v[0:1], off offset:59952
	ds_load_b128 v[0:3], v12 offset:60000
	s_wait_dscnt 0x0
	v_add_f64_e64 v[13:14], v[4:5], -v[0:1]
	v_add_f64_e32 v[15:16], v[6:7], v[2:3]
	v_add_f64_e64 v[2:3], v[6:7], -v[2:3]
	v_add_f64_e32 v[0:1], v[4:5], v[0:1]
	s_delay_alu instid0(VALU_DEP_4) | instskip(NEXT) | instid1(VALU_DEP_4)
	v_mul_f64_e32 v[6:7], 0.5, v[13:14]
	v_mul_f64_e32 v[4:5], 0.5, v[15:16]
	s_delay_alu instid0(VALU_DEP_4) | instskip(SKIP_1) | instid1(VALU_DEP_3)
	v_mul_f64_e32 v[2:3], 0.5, v[2:3]
	s_wait_loadcnt 0x0
	v_mul_f64_e32 v[13:14], v[6:7], v[10:11]
	s_delay_alu instid0(VALU_DEP_2) | instskip(SKIP_1) | instid1(VALU_DEP_3)
	v_fma_f64 v[15:16], v[4:5], v[10:11], v[2:3]
	v_fma_f64 v[2:3], v[4:5], v[10:11], -v[2:3]
	v_fma_f64 v[17:18], v[0:1], 0.5, v[13:14]
	v_fma_f64 v[0:1], v[0:1], 0.5, -v[13:14]
	s_delay_alu instid0(VALU_DEP_4) | instskip(NEXT) | instid1(VALU_DEP_4)
	v_fma_f64 v[10:11], -v[8:9], v[6:7], v[15:16]
	v_fma_f64 v[2:3], -v[8:9], v[6:7], v[2:3]
	s_delay_alu instid0(VALU_DEP_4) | instskip(NEXT) | instid1(VALU_DEP_4)
	v_fma_f64 v[13:14], v[4:5], v[8:9], v[17:18]
	v_fma_f64 v[0:1], -v[4:5], v[8:9], v[0:1]
	v_dual_mov_b32 v8, v124 :: v_dual_mov_b32 v9, v125
                                        ; implicit-def: $vgpr4_vgpr5
	ds_store_b64 v180, v[13:14]
.LBB0_15:
	s_wait_alu 0xfffe
	s_or_saveexec_b32 s0, s1
	v_sub_nc_u32_e32 v13, 0, v130
	v_sub_nc_u32_e32 v14, 0, v187
	s_wait_alu 0xfffe
	s_xor_b32 exec_lo, exec_lo, s0
	s_cbranch_execz .LBB0_17
; %bb.16:
	s_wait_dscnt 0x0
	v_add_f64_e32 v[15:16], v[4:5], v[6:7]
	v_add_f64_e64 v[0:1], v[4:5], -v[6:7]
	v_mov_b32_e32 v6, 0
	v_mov_b32_e32 v10, 0
	v_dual_mov_b32 v11, 0 :: v_dual_mov_b32 v8, 0
	s_delay_alu instid0(VALU_DEP_2)
	v_mov_b32_e32 v2, v10
	ds_load_b64 v[4:5], v6 offset:30008
	v_mov_b32_e32 v9, 0
	v_mov_b32_e32 v3, v11
	s_wait_dscnt 0x0
	v_xor_b32_e32 v5, 0x80000000, v5
	ds_store_b64 v180, v[15:16]
	ds_store_b64 v6, v[4:5] offset:30008
.LBB0_17:
	s_or_b32 exec_lo, exec_lo, s0
	v_dual_mov_b32 v130, 0 :: v_dual_add_nc_u32 v27, v181, v13
	v_add_nc_u32_e32 v14, v182, v14
	s_wait_dscnt 0x0
	s_delay_alu instid0(VALU_DEP_2) | instskip(SKIP_1) | instid1(VALU_DEP_2)
	v_lshlrev_b64_e32 v[4:5], 4, v[129:130]
	v_dual_mov_b32 v136, v130 :: v_dual_mov_b32 v129, v130
	v_add_co_u32 v4, s0, s4, v4
	s_wait_alu 0xf1ff
	s_delay_alu instid0(VALU_DEP_3) | instskip(NEXT) | instid1(VALU_DEP_3)
	v_add_co_ci_u32_e64 v5, s0, s5, v5, s0
	v_lshlrev_b64_e32 v[15:16], 4, v[135:136]
	v_mov_b32_e32 v135, v130
	global_load_b128 v[4:7], v[4:5], off offset:59952
	v_add_co_u32 v15, s0, s4, v15
	s_wait_alu 0xf1ff
	v_add_co_ci_u32_e64 v16, s0, s5, v16, s0
	global_load_b128 v[15:18], v[15:16], off offset:59952
	ds_store_b64 v180, v[10:11] offset:8
	ds_store_b128 v12, v[0:3] offset:60000
	ds_load_b128 v[0:3], v186
	ds_load_b128 v[19:22], v12 offset:58000
	s_wait_dscnt 0x0
	v_add_f64_e64 v[10:11], v[0:1], -v[19:20]
	v_add_f64_e32 v[23:24], v[2:3], v[21:22]
	v_add_f64_e64 v[2:3], v[2:3], -v[21:22]
	v_add_f64_e32 v[0:1], v[0:1], v[19:20]
	s_delay_alu instid0(VALU_DEP_4) | instskip(NEXT) | instid1(VALU_DEP_4)
	v_mul_f64_e32 v[10:11], 0.5, v[10:11]
	v_mul_f64_e32 v[21:22], 0.5, v[23:24]
	s_delay_alu instid0(VALU_DEP_4) | instskip(SKIP_1) | instid1(VALU_DEP_3)
	v_mul_f64_e32 v[2:3], 0.5, v[2:3]
	s_wait_loadcnt 0x1
	v_mul_f64_e32 v[19:20], v[10:11], v[6:7]
	s_delay_alu instid0(VALU_DEP_2) | instskip(SKIP_1) | instid1(VALU_DEP_3)
	v_fma_f64 v[23:24], v[21:22], v[6:7], v[2:3]
	v_fma_f64 v[6:7], v[21:22], v[6:7], -v[2:3]
	v_fma_f64 v[25:26], v[0:1], 0.5, v[19:20]
	v_fma_f64 v[19:20], v[0:1], 0.5, -v[19:20]
	s_delay_alu instid0(VALU_DEP_4) | instskip(NEXT) | instid1(VALU_DEP_4)
	v_fma_f64 v[2:3], -v[4:5], v[10:11], v[23:24]
	v_fma_f64 v[6:7], -v[4:5], v[10:11], v[6:7]
	v_lshlrev_b64_e32 v[10:11], 4, v[134:135]
	v_mov_b32_e32 v134, v130
	s_delay_alu instid0(VALU_DEP_2) | instskip(SKIP_1) | instid1(VALU_DEP_3)
	v_add_co_u32 v10, s0, s4, v10
	s_wait_alu 0xf1ff
	v_add_co_ci_u32_e64 v11, s0, s5, v11, s0
	v_fma_f64 v[0:1], v[21:22], v[4:5], v[25:26]
	v_fma_f64 v[4:5], -v[21:22], v[4:5], v[19:20]
	global_load_b128 v[19:22], v[10:11], off offset:59952
	ds_store_b128 v186, v[0:3]
	ds_store_b128 v12, v[4:7] offset:58000
	ds_load_b128 v[0:3], v185
	ds_load_b128 v[4:7], v12 offset:56000
	s_wait_dscnt 0x0
	v_add_f64_e64 v[10:11], v[0:1], -v[4:5]
	v_add_f64_e32 v[23:24], v[2:3], v[6:7]
	v_add_f64_e64 v[2:3], v[2:3], -v[6:7]
	v_add_f64_e32 v[0:1], v[0:1], v[4:5]
	s_delay_alu instid0(VALU_DEP_4) | instskip(NEXT) | instid1(VALU_DEP_4)
	v_mul_f64_e32 v[6:7], 0.5, v[10:11]
	v_mul_f64_e32 v[10:11], 0.5, v[23:24]
	s_delay_alu instid0(VALU_DEP_4) | instskip(SKIP_1) | instid1(VALU_DEP_3)
	v_mul_f64_e32 v[2:3], 0.5, v[2:3]
	s_wait_loadcnt 0x1
	v_mul_f64_e32 v[4:5], v[6:7], v[17:18]
	s_delay_alu instid0(VALU_DEP_2) | instskip(SKIP_1) | instid1(VALU_DEP_3)
	v_fma_f64 v[23:24], v[10:11], v[17:18], v[2:3]
	v_fma_f64 v[17:18], v[10:11], v[17:18], -v[2:3]
	v_fma_f64 v[25:26], v[0:1], 0.5, v[4:5]
	v_fma_f64 v[4:5], v[0:1], 0.5, -v[4:5]
	s_delay_alu instid0(VALU_DEP_4) | instskip(NEXT) | instid1(VALU_DEP_4)
	v_fma_f64 v[2:3], -v[15:16], v[6:7], v[23:24]
	v_fma_f64 v[6:7], -v[15:16], v[6:7], v[17:18]
	s_delay_alu instid0(VALU_DEP_4) | instskip(NEXT) | instid1(VALU_DEP_4)
	v_fma_f64 v[0:1], v[10:11], v[15:16], v[25:26]
	v_fma_f64 v[4:5], -v[10:11], v[15:16], v[4:5]
	v_lshlrev_b64_e32 v[10:11], 4, v[133:134]
	v_mov_b32_e32 v133, v130
	s_delay_alu instid0(VALU_DEP_2) | instskip(SKIP_1) | instid1(VALU_DEP_3)
	v_add_co_u32 v10, s0, s4, v10
	s_wait_alu 0xf1ff
	v_add_co_ci_u32_e64 v11, s0, s5, v11, s0
	global_load_b128 v[15:18], v[10:11], off offset:59952
	ds_store_b128 v185, v[0:3]
	ds_store_b128 v12, v[4:7] offset:56000
	ds_load_b128 v[0:3], v184
	ds_load_b128 v[4:7], v12 offset:54000
	s_wait_dscnt 0x0
	v_add_f64_e64 v[10:11], v[0:1], -v[4:5]
	v_add_f64_e32 v[23:24], v[2:3], v[6:7]
	v_add_f64_e64 v[2:3], v[2:3], -v[6:7]
	v_add_f64_e32 v[0:1], v[0:1], v[4:5]
	s_delay_alu instid0(VALU_DEP_4) | instskip(NEXT) | instid1(VALU_DEP_4)
	v_mul_f64_e32 v[6:7], 0.5, v[10:11]
	v_mul_f64_e32 v[10:11], 0.5, v[23:24]
	s_delay_alu instid0(VALU_DEP_4) | instskip(SKIP_1) | instid1(VALU_DEP_3)
	v_mul_f64_e32 v[2:3], 0.5, v[2:3]
	s_wait_loadcnt 0x1
	v_mul_f64_e32 v[4:5], v[6:7], v[21:22]
	s_delay_alu instid0(VALU_DEP_2) | instskip(SKIP_1) | instid1(VALU_DEP_3)
	v_fma_f64 v[23:24], v[10:11], v[21:22], v[2:3]
	v_fma_f64 v[21:22], v[10:11], v[21:22], -v[2:3]
	v_fma_f64 v[25:26], v[0:1], 0.5, v[4:5]
	v_fma_f64 v[4:5], v[0:1], 0.5, -v[4:5]
	s_delay_alu instid0(VALU_DEP_4) | instskip(NEXT) | instid1(VALU_DEP_4)
	v_fma_f64 v[2:3], -v[19:20], v[6:7], v[23:24]
	v_fma_f64 v[6:7], -v[19:20], v[6:7], v[21:22]
	s_delay_alu instid0(VALU_DEP_4) | instskip(NEXT) | instid1(VALU_DEP_4)
	v_fma_f64 v[0:1], v[10:11], v[19:20], v[25:26]
	v_fma_f64 v[4:5], -v[10:11], v[19:20], v[4:5]
	v_lshlrev_b64_e32 v[10:11], 4, v[132:133]
	v_mov_b32_e32 v132, v130
	s_delay_alu instid0(VALU_DEP_2) | instskip(SKIP_1) | instid1(VALU_DEP_3)
	v_add_co_u32 v10, s0, s4, v10
	s_wait_alu 0xf1ff
	v_add_co_ci_u32_e64 v11, s0, s5, v11, s0
	global_load_b128 v[19:22], v[10:11], off offset:59952
	ds_store_b128 v184, v[0:3]
	ds_store_b128 v12, v[4:7] offset:54000
	ds_load_b128 v[0:3], v183
	ds_load_b128 v[4:7], v12 offset:52000
	s_wait_dscnt 0x0
	v_add_f64_e64 v[10:11], v[0:1], -v[4:5]
	v_add_f64_e32 v[23:24], v[2:3], v[6:7]
	v_add_f64_e64 v[2:3], v[2:3], -v[6:7]
	v_add_f64_e32 v[0:1], v[0:1], v[4:5]
	s_delay_alu instid0(VALU_DEP_4) | instskip(NEXT) | instid1(VALU_DEP_4)
	v_mul_f64_e32 v[6:7], 0.5, v[10:11]
	v_mul_f64_e32 v[10:11], 0.5, v[23:24]
	s_delay_alu instid0(VALU_DEP_4) | instskip(SKIP_1) | instid1(VALU_DEP_3)
	v_mul_f64_e32 v[2:3], 0.5, v[2:3]
	s_wait_loadcnt 0x1
	v_mul_f64_e32 v[4:5], v[6:7], v[17:18]
	s_delay_alu instid0(VALU_DEP_2) | instskip(SKIP_1) | instid1(VALU_DEP_3)
	v_fma_f64 v[23:24], v[10:11], v[17:18], v[2:3]
	v_fma_f64 v[17:18], v[10:11], v[17:18], -v[2:3]
	v_fma_f64 v[25:26], v[0:1], 0.5, v[4:5]
	v_fma_f64 v[4:5], v[0:1], 0.5, -v[4:5]
	s_delay_alu instid0(VALU_DEP_4) | instskip(NEXT) | instid1(VALU_DEP_4)
	v_fma_f64 v[2:3], -v[15:16], v[6:7], v[23:24]
	v_fma_f64 v[6:7], -v[15:16], v[6:7], v[17:18]
	s_delay_alu instid0(VALU_DEP_4) | instskip(NEXT) | instid1(VALU_DEP_4)
	v_fma_f64 v[0:1], v[10:11], v[15:16], v[25:26]
	v_fma_f64 v[4:5], -v[10:11], v[15:16], v[4:5]
	v_lshlrev_b64_e32 v[10:11], 4, v[131:132]
	s_delay_alu instid0(VALU_DEP_1) | instskip(SKIP_1) | instid1(VALU_DEP_2)
	v_add_co_u32 v10, s0, s4, v10
	s_wait_alu 0xf1ff
	v_add_co_ci_u32_e64 v11, s0, s5, v11, s0
	s_add_nc_u64 s[0:1], s[4:5], 0xea30
	global_load_b128 v[15:18], v[10:11], off offset:59952
	ds_store_b128 v183, v[0:3]
	ds_store_b128 v12, v[4:7] offset:52000
	ds_load_b128 v[0:3], v14
	ds_load_b128 v[4:7], v12 offset:50000
	s_wait_dscnt 0x0
	v_add_f64_e64 v[10:11], v[0:1], -v[4:5]
	v_add_f64_e32 v[23:24], v[2:3], v[6:7]
	v_add_f64_e64 v[2:3], v[2:3], -v[6:7]
	v_add_f64_e32 v[0:1], v[0:1], v[4:5]
	s_delay_alu instid0(VALU_DEP_4) | instskip(NEXT) | instid1(VALU_DEP_4)
	v_mul_f64_e32 v[10:11], 0.5, v[10:11]
	v_mul_f64_e32 v[23:24], 0.5, v[23:24]
	s_delay_alu instid0(VALU_DEP_4) | instskip(SKIP_1) | instid1(VALU_DEP_3)
	v_mul_f64_e32 v[2:3], 0.5, v[2:3]
	s_wait_loadcnt 0x1
	v_mul_f64_e32 v[4:5], v[10:11], v[21:22]
	s_delay_alu instid0(VALU_DEP_2) | instskip(SKIP_1) | instid1(VALU_DEP_3)
	v_fma_f64 v[6:7], v[23:24], v[21:22], v[2:3]
	v_fma_f64 v[2:3], v[23:24], v[21:22], -v[2:3]
	v_fma_f64 v[25:26], v[0:1], 0.5, v[4:5]
	v_fma_f64 v[0:1], v[0:1], 0.5, -v[4:5]
	s_delay_alu instid0(VALU_DEP_4) | instskip(NEXT) | instid1(VALU_DEP_4)
	v_fma_f64 v[6:7], -v[19:20], v[10:11], v[6:7]
	v_fma_f64 v[21:22], -v[19:20], v[10:11], v[2:3]
	s_delay_alu instid0(VALU_DEP_4) | instskip(NEXT) | instid1(VALU_DEP_4)
	v_fma_f64 v[4:5], v[23:24], v[19:20], v[25:26]
	v_fma_f64 v[19:20], -v[23:24], v[19:20], v[0:1]
	v_lshlrev_b64_e32 v[0:1], 4, v[8:9]
	s_wait_alu 0xfffe
	s_delay_alu instid0(VALU_DEP_1) | instskip(SKIP_1) | instid1(VALU_DEP_2)
	v_add_co_u32 v2, s0, s0, v0
	s_wait_alu 0xf1ff
	v_add_co_ci_u32_e64 v3, s0, s1, v1, s0
	global_load_b128 v[8:11], v[2:3], off offset:14000
	ds_store_b128 v14, v[4:7]
	ds_store_b128 v12, v[19:22] offset:50000
	ds_load_b128 v[4:7], v27
	ds_load_b128 v[19:22], v12 offset:48000
	s_wait_dscnt 0x0
	v_add_f64_e64 v[13:14], v[4:5], -v[19:20]
	v_add_f64_e32 v[23:24], v[6:7], v[21:22]
	v_add_f64_e64 v[6:7], v[6:7], -v[21:22]
	v_add_f64_e32 v[4:5], v[4:5], v[19:20]
	s_delay_alu instid0(VALU_DEP_4) | instskip(NEXT) | instid1(VALU_DEP_4)
	v_mul_f64_e32 v[13:14], 0.5, v[13:14]
	v_mul_f64_e32 v[21:22], 0.5, v[23:24]
	s_delay_alu instid0(VALU_DEP_4) | instskip(SKIP_1) | instid1(VALU_DEP_3)
	v_mul_f64_e32 v[6:7], 0.5, v[6:7]
	s_wait_loadcnt 0x1
	v_mul_f64_e32 v[19:20], v[13:14], v[17:18]
	s_delay_alu instid0(VALU_DEP_2) | instskip(SKIP_1) | instid1(VALU_DEP_3)
	v_fma_f64 v[23:24], v[21:22], v[17:18], v[6:7]
	v_fma_f64 v[17:18], v[21:22], v[17:18], -v[6:7]
	v_fma_f64 v[25:26], v[4:5], 0.5, v[19:20]
	v_fma_f64 v[19:20], v[4:5], 0.5, -v[19:20]
	s_delay_alu instid0(VALU_DEP_4) | instskip(NEXT) | instid1(VALU_DEP_4)
	v_fma_f64 v[6:7], -v[15:16], v[13:14], v[23:24]
	v_fma_f64 v[17:18], -v[15:16], v[13:14], v[17:18]
	s_delay_alu instid0(VALU_DEP_4) | instskip(NEXT) | instid1(VALU_DEP_4)
	v_fma_f64 v[4:5], v[21:22], v[15:16], v[25:26]
	v_fma_f64 v[15:16], -v[21:22], v[15:16], v[19:20]
	global_load_b128 v[19:22], v[2:3], off offset:16000
	ds_store_b128 v27, v[4:7]
	ds_store_b128 v12, v[15:18] offset:48000
	ds_load_b128 v[4:7], v180 offset:14000
	ds_load_b128 v[13:16], v12 offset:46000
	s_wait_dscnt 0x0
	v_add_f64_e64 v[17:18], v[4:5], -v[13:14]
	v_add_f64_e32 v[23:24], v[6:7], v[15:16]
	v_add_f64_e64 v[6:7], v[6:7], -v[15:16]
	v_add_f64_e32 v[4:5], v[4:5], v[13:14]
	s_delay_alu instid0(VALU_DEP_4) | instskip(NEXT) | instid1(VALU_DEP_4)
	v_mul_f64_e32 v[15:16], 0.5, v[17:18]
	v_mul_f64_e32 v[17:18], 0.5, v[23:24]
	s_delay_alu instid0(VALU_DEP_4) | instskip(SKIP_1) | instid1(VALU_DEP_3)
	v_mul_f64_e32 v[6:7], 0.5, v[6:7]
	s_wait_loadcnt 0x1
	v_mul_f64_e32 v[13:14], v[15:16], v[10:11]
	s_delay_alu instid0(VALU_DEP_2) | instskip(SKIP_1) | instid1(VALU_DEP_3)
	v_fma_f64 v[23:24], v[17:18], v[10:11], v[6:7]
	v_fma_f64 v[10:11], v[17:18], v[10:11], -v[6:7]
	v_fma_f64 v[25:26], v[4:5], 0.5, v[13:14]
	v_fma_f64 v[13:14], v[4:5], 0.5, -v[13:14]
	s_delay_alu instid0(VALU_DEP_4) | instskip(NEXT) | instid1(VALU_DEP_4)
	v_fma_f64 v[6:7], -v[8:9], v[15:16], v[23:24]
	v_fma_f64 v[10:11], -v[8:9], v[15:16], v[10:11]
	s_delay_alu instid0(VALU_DEP_4) | instskip(NEXT) | instid1(VALU_DEP_4)
	v_fma_f64 v[4:5], v[17:18], v[8:9], v[25:26]
	v_fma_f64 v[8:9], -v[17:18], v[8:9], v[13:14]
	v_lshlrev_b64_e32 v[13:14], 4, v[128:129]
	s_delay_alu instid0(VALU_DEP_1) | instskip(SKIP_1) | instid1(VALU_DEP_2)
	v_add_co_u32 v13, s0, s4, v13
	s_wait_alu 0xf1ff
	v_add_co_ci_u32_e64 v14, s0, s5, v14, s0
	global_load_b128 v[13:16], v[13:14], off offset:59952
	ds_store_b128 v180, v[4:7] offset:14000
	ds_store_b128 v12, v[8:11] offset:46000
	ds_load_b128 v[4:7], v180 offset:16000
	ds_load_b128 v[8:11], v12 offset:44000
	s_wait_dscnt 0x0
	v_add_f64_e64 v[17:18], v[4:5], -v[8:9]
	v_add_f64_e32 v[23:24], v[6:7], v[10:11]
	v_add_f64_e64 v[6:7], v[6:7], -v[10:11]
	v_add_f64_e32 v[4:5], v[4:5], v[8:9]
	s_delay_alu instid0(VALU_DEP_4) | instskip(NEXT) | instid1(VALU_DEP_4)
	v_mul_f64_e32 v[10:11], 0.5, v[17:18]
	v_mul_f64_e32 v[17:18], 0.5, v[23:24]
	s_delay_alu instid0(VALU_DEP_4) | instskip(SKIP_1) | instid1(VALU_DEP_3)
	v_mul_f64_e32 v[6:7], 0.5, v[6:7]
	s_wait_loadcnt 0x1
	v_mul_f64_e32 v[8:9], v[10:11], v[21:22]
	s_delay_alu instid0(VALU_DEP_2) | instskip(SKIP_1) | instid1(VALU_DEP_3)
	v_fma_f64 v[23:24], v[17:18], v[21:22], v[6:7]
	v_fma_f64 v[21:22], v[17:18], v[21:22], -v[6:7]
	v_fma_f64 v[25:26], v[4:5], 0.5, v[8:9]
	v_fma_f64 v[8:9], v[4:5], 0.5, -v[8:9]
	s_delay_alu instid0(VALU_DEP_4) | instskip(NEXT) | instid1(VALU_DEP_4)
	v_fma_f64 v[6:7], -v[19:20], v[10:11], v[23:24]
	v_fma_f64 v[10:11], -v[19:20], v[10:11], v[21:22]
	s_delay_alu instid0(VALU_DEP_4) | instskip(NEXT) | instid1(VALU_DEP_4)
	v_fma_f64 v[4:5], v[17:18], v[19:20], v[25:26]
	v_fma_f64 v[8:9], -v[17:18], v[19:20], v[8:9]
	global_load_b128 v[17:20], v[2:3], off offset:20000
	ds_store_b128 v180, v[4:7] offset:16000
	ds_store_b128 v12, v[8:11] offset:44000
	ds_load_b128 v[4:7], v190
	ds_load_b128 v[8:11], v12 offset:42000
	s_wait_dscnt 0x0
	v_add_f64_e64 v[21:22], v[4:5], -v[8:9]
	v_add_f64_e32 v[25:26], v[6:7], v[10:11]
	v_add_f64_e64 v[6:7], v[6:7], -v[10:11]
	v_add_f64_e32 v[4:5], v[4:5], v[8:9]
	s_delay_alu instid0(VALU_DEP_4) | instskip(NEXT) | instid1(VALU_DEP_4)
	v_mul_f64_e32 v[10:11], 0.5, v[21:22]
	v_mul_f64_e32 v[25:26], 0.5, v[25:26]
	s_delay_alu instid0(VALU_DEP_4)
	v_mul_f64_e32 v[6:7], 0.5, v[6:7]
	global_load_b128 v[21:24], v[2:3], off offset:28000
	s_wait_loadcnt 0x2
	v_mul_f64_e32 v[8:9], v[10:11], v[15:16]
	v_fma_f64 v[27:28], v[25:26], v[15:16], v[6:7]
	v_fma_f64 v[15:16], v[25:26], v[15:16], -v[6:7]
	s_delay_alu instid0(VALU_DEP_3) | instskip(SKIP_1) | instid1(VALU_DEP_4)
	v_fma_f64 v[29:30], v[4:5], 0.5, v[8:9]
	v_fma_f64 v[8:9], v[4:5], 0.5, -v[8:9]
	v_fma_f64 v[6:7], -v[13:14], v[10:11], v[27:28]
	s_delay_alu instid0(VALU_DEP_4) | instskip(NEXT) | instid1(VALU_DEP_4)
	v_fma_f64 v[10:11], -v[13:14], v[10:11], v[15:16]
	v_fma_f64 v[4:5], v[25:26], v[13:14], v[29:30]
	s_delay_alu instid0(VALU_DEP_4)
	v_fma_f64 v[8:9], -v[25:26], v[13:14], v[8:9]
	global_load_b128 v[13:16], v[2:3], off offset:22000
	ds_store_b128 v190, v[4:7]
	ds_store_b128 v12, v[8:11] offset:42000
	ds_load_b128 v[4:7], v180 offset:20000
	ds_load_b128 v[8:11], v12 offset:40000
	s_wait_dscnt 0x0
	v_add_f64_e64 v[25:26], v[4:5], -v[8:9]
	v_add_f64_e32 v[27:28], v[6:7], v[10:11]
	v_add_f64_e64 v[6:7], v[6:7], -v[10:11]
	v_add_f64_e32 v[4:5], v[4:5], v[8:9]
	s_delay_alu instid0(VALU_DEP_4) | instskip(NEXT) | instid1(VALU_DEP_4)
	v_mul_f64_e32 v[10:11], 0.5, v[25:26]
	v_mul_f64_e32 v[25:26], 0.5, v[27:28]
	s_delay_alu instid0(VALU_DEP_4) | instskip(SKIP_1) | instid1(VALU_DEP_3)
	v_mul_f64_e32 v[6:7], 0.5, v[6:7]
	s_wait_loadcnt 0x2
	v_mul_f64_e32 v[8:9], v[10:11], v[19:20]
	s_delay_alu instid0(VALU_DEP_2) | instskip(SKIP_1) | instid1(VALU_DEP_3)
	v_fma_f64 v[27:28], v[25:26], v[19:20], v[6:7]
	v_fma_f64 v[19:20], v[25:26], v[19:20], -v[6:7]
	v_fma_f64 v[29:30], v[4:5], 0.5, v[8:9]
	v_fma_f64 v[8:9], v[4:5], 0.5, -v[8:9]
	s_delay_alu instid0(VALU_DEP_4) | instskip(NEXT) | instid1(VALU_DEP_4)
	v_fma_f64 v[6:7], -v[17:18], v[10:11], v[27:28]
	v_fma_f64 v[10:11], -v[17:18], v[10:11], v[19:20]
	s_delay_alu instid0(VALU_DEP_4) | instskip(NEXT) | instid1(VALU_DEP_4)
	v_fma_f64 v[4:5], v[25:26], v[17:18], v[29:30]
	v_fma_f64 v[8:9], -v[25:26], v[17:18], v[8:9]
	global_load_b128 v[17:20], v[2:3], off offset:24000
	ds_store_b128 v180, v[4:7] offset:20000
	ds_store_b128 v12, v[8:11] offset:40000
	ds_load_b128 v[4:7], v180 offset:22000
	ds_load_b128 v[8:11], v12 offset:38000
	s_wait_dscnt 0x0
	v_add_f64_e64 v[25:26], v[4:5], -v[8:9]
	v_add_f64_e32 v[27:28], v[6:7], v[10:11]
	v_add_f64_e64 v[6:7], v[6:7], -v[10:11]
	v_add_f64_e32 v[4:5], v[4:5], v[8:9]
	s_delay_alu instid0(VALU_DEP_4) | instskip(NEXT) | instid1(VALU_DEP_4)
	v_mul_f64_e32 v[10:11], 0.5, v[25:26]
	v_mul_f64_e32 v[25:26], 0.5, v[27:28]
	s_delay_alu instid0(VALU_DEP_4) | instskip(SKIP_1) | instid1(VALU_DEP_3)
	v_mul_f64_e32 v[6:7], 0.5, v[6:7]
	s_wait_loadcnt 0x1
	v_mul_f64_e32 v[8:9], v[10:11], v[15:16]
	s_delay_alu instid0(VALU_DEP_2) | instskip(SKIP_1) | instid1(VALU_DEP_3)
	v_fma_f64 v[27:28], v[25:26], v[15:16], v[6:7]
	v_fma_f64 v[15:16], v[25:26], v[15:16], -v[6:7]
	v_fma_f64 v[29:30], v[4:5], 0.5, v[8:9]
	v_fma_f64 v[8:9], v[4:5], 0.5, -v[8:9]
	s_delay_alu instid0(VALU_DEP_4) | instskip(NEXT) | instid1(VALU_DEP_4)
	v_fma_f64 v[6:7], -v[13:14], v[10:11], v[27:28]
	v_fma_f64 v[10:11], -v[13:14], v[10:11], v[15:16]
	s_delay_alu instid0(VALU_DEP_4) | instskip(NEXT) | instid1(VALU_DEP_4)
	v_fma_f64 v[4:5], v[25:26], v[13:14], v[29:30]
	v_fma_f64 v[8:9], -v[25:26], v[13:14], v[8:9]
	global_load_b128 v[13:16], v[2:3], off offset:26000
	ds_store_b128 v180, v[4:7] offset:22000
	ds_store_b128 v12, v[8:11] offset:38000
	ds_load_b128 v[2:5], v180 offset:24000
	ds_load_b128 v[6:9], v12 offset:36000
	s_wait_dscnt 0x0
	v_add_f64_e64 v[10:11], v[2:3], -v[6:7]
	v_add_f64_e32 v[25:26], v[4:5], v[8:9]
	v_add_f64_e64 v[4:5], v[4:5], -v[8:9]
	v_add_f64_e32 v[2:3], v[2:3], v[6:7]
	s_delay_alu instid0(VALU_DEP_4) | instskip(NEXT) | instid1(VALU_DEP_4)
	v_mul_f64_e32 v[8:9], 0.5, v[10:11]
	v_mul_f64_e32 v[10:11], 0.5, v[25:26]
	s_delay_alu instid0(VALU_DEP_4) | instskip(SKIP_1) | instid1(VALU_DEP_3)
	v_mul_f64_e32 v[4:5], 0.5, v[4:5]
	s_wait_loadcnt 0x1
	v_mul_f64_e32 v[6:7], v[8:9], v[19:20]
	s_delay_alu instid0(VALU_DEP_2) | instskip(SKIP_1) | instid1(VALU_DEP_3)
	v_fma_f64 v[25:26], v[10:11], v[19:20], v[4:5]
	v_fma_f64 v[19:20], v[10:11], v[19:20], -v[4:5]
	v_fma_f64 v[27:28], v[2:3], 0.5, v[6:7]
	v_fma_f64 v[6:7], v[2:3], 0.5, -v[6:7]
	s_delay_alu instid0(VALU_DEP_4) | instskip(NEXT) | instid1(VALU_DEP_4)
	v_fma_f64 v[4:5], -v[17:18], v[8:9], v[25:26]
	v_fma_f64 v[8:9], -v[17:18], v[8:9], v[19:20]
	s_delay_alu instid0(VALU_DEP_4) | instskip(NEXT) | instid1(VALU_DEP_4)
	v_fma_f64 v[2:3], v[10:11], v[17:18], v[27:28]
	v_fma_f64 v[6:7], -v[10:11], v[17:18], v[6:7]
	ds_store_b128 v180, v[2:5] offset:24000
	ds_store_b128 v12, v[6:9] offset:36000
	ds_load_b128 v[2:5], v180 offset:26000
	ds_load_b128 v[6:9], v12 offset:34000
	s_wait_dscnt 0x0
	v_add_f64_e64 v[10:11], v[2:3], -v[6:7]
	v_add_f64_e32 v[17:18], v[4:5], v[8:9]
	v_add_f64_e64 v[4:5], v[4:5], -v[8:9]
	v_add_f64_e32 v[2:3], v[2:3], v[6:7]
	s_delay_alu instid0(VALU_DEP_4) | instskip(NEXT) | instid1(VALU_DEP_4)
	v_mul_f64_e32 v[8:9], 0.5, v[10:11]
	v_mul_f64_e32 v[10:11], 0.5, v[17:18]
	s_delay_alu instid0(VALU_DEP_4) | instskip(SKIP_1) | instid1(VALU_DEP_3)
	v_mul_f64_e32 v[4:5], 0.5, v[4:5]
	s_wait_loadcnt 0x0
	v_mul_f64_e32 v[6:7], v[8:9], v[15:16]
	s_delay_alu instid0(VALU_DEP_2) | instskip(SKIP_1) | instid1(VALU_DEP_3)
	v_fma_f64 v[17:18], v[10:11], v[15:16], v[4:5]
	v_fma_f64 v[15:16], v[10:11], v[15:16], -v[4:5]
	v_fma_f64 v[19:20], v[2:3], 0.5, v[6:7]
	v_fma_f64 v[6:7], v[2:3], 0.5, -v[6:7]
	s_delay_alu instid0(VALU_DEP_4) | instskip(NEXT) | instid1(VALU_DEP_4)
	v_fma_f64 v[4:5], -v[13:14], v[8:9], v[17:18]
	v_fma_f64 v[8:9], -v[13:14], v[8:9], v[15:16]
	s_delay_alu instid0(VALU_DEP_4) | instskip(NEXT) | instid1(VALU_DEP_4)
	v_fma_f64 v[2:3], v[10:11], v[13:14], v[19:20]
	v_fma_f64 v[6:7], -v[10:11], v[13:14], v[6:7]
	ds_store_b128 v180, v[2:5] offset:26000
	ds_store_b128 v12, v[6:9] offset:34000
	ds_load_b128 v[2:5], v180 offset:28000
	ds_load_b128 v[6:9], v12 offset:32000
	s_wait_dscnt 0x0
	v_add_f64_e64 v[10:11], v[2:3], -v[6:7]
	v_add_f64_e32 v[13:14], v[4:5], v[8:9]
	v_add_f64_e64 v[4:5], v[4:5], -v[8:9]
	v_add_f64_e32 v[2:3], v[2:3], v[6:7]
	s_delay_alu instid0(VALU_DEP_4) | instskip(NEXT) | instid1(VALU_DEP_4)
	v_mul_f64_e32 v[8:9], 0.5, v[10:11]
	v_mul_f64_e32 v[10:11], 0.5, v[13:14]
	s_delay_alu instid0(VALU_DEP_4) | instskip(NEXT) | instid1(VALU_DEP_3)
	v_mul_f64_e32 v[4:5], 0.5, v[4:5]
	v_mul_f64_e32 v[6:7], v[8:9], v[23:24]
	s_delay_alu instid0(VALU_DEP_2) | instskip(SKIP_1) | instid1(VALU_DEP_3)
	v_fma_f64 v[13:14], v[10:11], v[23:24], v[4:5]
	v_fma_f64 v[15:16], v[10:11], v[23:24], -v[4:5]
	v_fma_f64 v[17:18], v[2:3], 0.5, v[6:7]
	v_fma_f64 v[6:7], v[2:3], 0.5, -v[6:7]
	s_delay_alu instid0(VALU_DEP_4) | instskip(NEXT) | instid1(VALU_DEP_4)
	v_fma_f64 v[4:5], -v[21:22], v[8:9], v[13:14]
	v_fma_f64 v[8:9], -v[21:22], v[8:9], v[15:16]
	s_delay_alu instid0(VALU_DEP_4) | instskip(NEXT) | instid1(VALU_DEP_4)
	v_fma_f64 v[2:3], v[10:11], v[21:22], v[17:18]
	v_fma_f64 v[6:7], -v[10:11], v[21:22], v[6:7]
	ds_store_b128 v180, v[2:5] offset:28000
	ds_store_b128 v12, v[6:9] offset:32000
	global_wb scope:SCOPE_SE
	s_wait_dscnt 0x0
	s_barrier_signal -1
	s_barrier_wait -1
	global_inv scope:SCOPE_SE
	s_and_saveexec_b32 s0, vcc_lo
	s_cbranch_execz .LBB0_20
; %bb.18:
	ds_load_b128 v[4:7], v180
	ds_load_b128 v[8:11], v180 offset:2000
	ds_load_b128 v[12:15], v180 offset:4000
	;; [unrolled: 1-line block ×7, first 2 shown]
	v_add_co_u32 v2, vcc_lo, s8, v126
	s_wait_alu 0xfffd
	v_add_co_ci_u32_e32 v3, vcc_lo, s9, v127, vcc_lo
	ds_load_b128 v[36:39], v180 offset:58000
	v_add_co_u32 v0, vcc_lo, v2, v0
	s_wait_alu 0xfffd
	v_add_co_ci_u32_e32 v1, vcc_lo, v3, v1, vcc_lo
	v_cmp_eq_u32_e32 vcc_lo, 0x7c, v124
	s_wait_dscnt 0x8
	global_store_b128 v[0:1], v[4:7], off
	s_wait_dscnt 0x7
	global_store_b128 v[0:1], v[8:11], off offset:2000
	s_wait_dscnt 0x6
	global_store_b128 v[0:1], v[12:15], off offset:4000
	;; [unrolled: 2-line block ×5, first 2 shown]
	ds_load_b128 v[4:7], v180 offset:16000
	ds_load_b128 v[8:11], v180 offset:18000
	s_wait_dscnt 0x4
	global_store_b128 v[0:1], v[28:31], off offset:12000
	s_wait_dscnt 0x3
	global_store_b128 v[0:1], v[32:35], off offset:14000
	ds_load_b128 v[12:15], v180 offset:20000
	ds_load_b128 v[16:19], v180 offset:22000
	;; [unrolled: 1-line block ×16, first 2 shown]
	s_wait_dscnt 0x11
	global_store_b128 v[0:1], v[4:7], off offset:16000
	s_wait_dscnt 0x10
	global_store_b128 v[0:1], v[8:11], off offset:18000
	ds_load_b128 v[4:7], v180 offset:52000
	ds_load_b128 v[8:11], v180 offset:54000
	;; [unrolled: 1-line block ×3, first 2 shown]
	s_wait_dscnt 0x12
	global_store_b128 v[0:1], v[12:15], off offset:20000
	s_wait_dscnt 0x11
	global_store_b128 v[0:1], v[16:19], off offset:22000
	s_wait_dscnt 0x10
	global_store_b128 v[0:1], v[20:23], off offset:24000
	s_wait_dscnt 0xf
	global_store_b128 v[0:1], v[24:27], off offset:26000
	s_wait_dscnt 0xe
	global_store_b128 v[0:1], v[28:31], off offset:28000
	s_wait_dscnt 0xd
	global_store_b128 v[0:1], v[32:35], off offset:30000
	s_wait_dscnt 0xc
	global_store_b128 v[0:1], v[40:43], off offset:32000
	s_wait_dscnt 0xb
	global_store_b128 v[0:1], v[44:47], off offset:34000
	s_wait_dscnt 0xa
	global_store_b128 v[0:1], v[48:51], off offset:36000
	s_wait_dscnt 0x9
	global_store_b128 v[0:1], v[52:55], off offset:38000
	s_wait_dscnt 0x8
	global_store_b128 v[0:1], v[56:59], off offset:40000
	s_wait_dscnt 0x7
	global_store_b128 v[0:1], v[60:63], off offset:42000
	s_wait_dscnt 0x6
	global_store_b128 v[0:1], v[64:67], off offset:44000
	s_wait_dscnt 0x5
	global_store_b128 v[0:1], v[68:71], off offset:46000
	s_wait_dscnt 0x4
	global_store_b128 v[0:1], v[72:75], off offset:48000
	s_wait_dscnt 0x3
	global_store_b128 v[0:1], v[76:79], off offset:50000
	s_wait_dscnt 0x2
	global_store_b128 v[0:1], v[4:7], off offset:52000
	s_wait_dscnt 0x1
	global_store_b128 v[0:1], v[8:11], off offset:54000
	s_wait_dscnt 0x0
	s_clause 0x1
	global_store_b128 v[0:1], v[80:83], off offset:56000
	global_store_b128 v[0:1], v[36:39], off offset:58000
	s_and_b32 exec_lo, exec_lo, vcc_lo
	s_cbranch_execz .LBB0_20
; %bb.19:
	v_mov_b32_e32 v0, 0
	ds_load_b128 v[4:7], v0 offset:60000
	s_wait_dscnt 0x0
	global_store_b128 v[2:3], v[4:7], off offset:60000
.LBB0_20:
	s_nop 0
	s_sendmsg sendmsg(MSG_DEALLOC_VGPRS)
	s_endpgm
	.section	.rodata,"a",@progbits
	.p2align	6, 0x0
	.amdhsa_kernel fft_rtc_fwd_len3750_factors_3_5_5_10_5_wgs_125_tpt_125_halfLds_dp_ip_CI_unitstride_sbrr_R2C_dirReg
		.amdhsa_group_segment_fixed_size 0
		.amdhsa_private_segment_fixed_size 0
		.amdhsa_kernarg_size 88
		.amdhsa_user_sgpr_count 2
		.amdhsa_user_sgpr_dispatch_ptr 0
		.amdhsa_user_sgpr_queue_ptr 0
		.amdhsa_user_sgpr_kernarg_segment_ptr 1
		.amdhsa_user_sgpr_dispatch_id 0
		.amdhsa_user_sgpr_private_segment_size 0
		.amdhsa_wavefront_size32 1
		.amdhsa_uses_dynamic_stack 0
		.amdhsa_enable_private_segment 0
		.amdhsa_system_sgpr_workgroup_id_x 1
		.amdhsa_system_sgpr_workgroup_id_y 0
		.amdhsa_system_sgpr_workgroup_id_z 0
		.amdhsa_system_sgpr_workgroup_info 0
		.amdhsa_system_vgpr_workitem_id 0
		.amdhsa_next_free_vgpr 255
		.amdhsa_next_free_sgpr 32
		.amdhsa_reserve_vcc 1
		.amdhsa_float_round_mode_32 0
		.amdhsa_float_round_mode_16_64 0
		.amdhsa_float_denorm_mode_32 3
		.amdhsa_float_denorm_mode_16_64 3
		.amdhsa_fp16_overflow 0
		.amdhsa_workgroup_processor_mode 1
		.amdhsa_memory_ordered 1
		.amdhsa_forward_progress 0
		.amdhsa_round_robin_scheduling 0
		.amdhsa_exception_fp_ieee_invalid_op 0
		.amdhsa_exception_fp_denorm_src 0
		.amdhsa_exception_fp_ieee_div_zero 0
		.amdhsa_exception_fp_ieee_overflow 0
		.amdhsa_exception_fp_ieee_underflow 0
		.amdhsa_exception_fp_ieee_inexact 0
		.amdhsa_exception_int_div_zero 0
	.end_amdhsa_kernel
	.text
.Lfunc_end0:
	.size	fft_rtc_fwd_len3750_factors_3_5_5_10_5_wgs_125_tpt_125_halfLds_dp_ip_CI_unitstride_sbrr_R2C_dirReg, .Lfunc_end0-fft_rtc_fwd_len3750_factors_3_5_5_10_5_wgs_125_tpt_125_halfLds_dp_ip_CI_unitstride_sbrr_R2C_dirReg
                                        ; -- End function
	.section	.AMDGPU.csdata,"",@progbits
; Kernel info:
; codeLenInByte = 25484
; NumSgprs: 34
; NumVgprs: 255
; ScratchSize: 0
; MemoryBound: 0
; FloatMode: 240
; IeeeMode: 1
; LDSByteSize: 0 bytes/workgroup (compile time only)
; SGPRBlocks: 4
; VGPRBlocks: 31
; NumSGPRsForWavesPerEU: 34
; NumVGPRsForWavesPerEU: 255
; Occupancy: 5
; WaveLimiterHint : 1
; COMPUTE_PGM_RSRC2:SCRATCH_EN: 0
; COMPUTE_PGM_RSRC2:USER_SGPR: 2
; COMPUTE_PGM_RSRC2:TRAP_HANDLER: 0
; COMPUTE_PGM_RSRC2:TGID_X_EN: 1
; COMPUTE_PGM_RSRC2:TGID_Y_EN: 0
; COMPUTE_PGM_RSRC2:TGID_Z_EN: 0
; COMPUTE_PGM_RSRC2:TIDIG_COMP_CNT: 0
	.text
	.p2alignl 7, 3214868480
	.fill 96, 4, 3214868480
	.type	__hip_cuid_a6a6da0850ec5399,@object ; @__hip_cuid_a6a6da0850ec5399
	.section	.bss,"aw",@nobits
	.globl	__hip_cuid_a6a6da0850ec5399
__hip_cuid_a6a6da0850ec5399:
	.byte	0                               ; 0x0
	.size	__hip_cuid_a6a6da0850ec5399, 1

	.ident	"AMD clang version 19.0.0git (https://github.com/RadeonOpenCompute/llvm-project roc-6.4.0 25133 c7fe45cf4b819c5991fe208aaa96edf142730f1d)"
	.section	".note.GNU-stack","",@progbits
	.addrsig
	.addrsig_sym __hip_cuid_a6a6da0850ec5399
	.amdgpu_metadata
---
amdhsa.kernels:
  - .args:
      - .actual_access:  read_only
        .address_space:  global
        .offset:         0
        .size:           8
        .value_kind:     global_buffer
      - .offset:         8
        .size:           8
        .value_kind:     by_value
      - .actual_access:  read_only
        .address_space:  global
        .offset:         16
        .size:           8
        .value_kind:     global_buffer
      - .actual_access:  read_only
        .address_space:  global
        .offset:         24
        .size:           8
        .value_kind:     global_buffer
      - .offset:         32
        .size:           8
        .value_kind:     by_value
      - .actual_access:  read_only
        .address_space:  global
        .offset:         40
        .size:           8
        .value_kind:     global_buffer
      - .actual_access:  read_only
        .address_space:  global
        .offset:         48
        .size:           8
        .value_kind:     global_buffer
      - .offset:         56
        .size:           4
        .value_kind:     by_value
      - .actual_access:  read_only
        .address_space:  global
        .offset:         64
        .size:           8
        .value_kind:     global_buffer
      - .actual_access:  read_only
        .address_space:  global
        .offset:         72
        .size:           8
        .value_kind:     global_buffer
      - .address_space:  global
        .offset:         80
        .size:           8
        .value_kind:     global_buffer
    .group_segment_fixed_size: 0
    .kernarg_segment_align: 8
    .kernarg_segment_size: 88
    .language:       OpenCL C
    .language_version:
      - 2
      - 0
    .max_flat_workgroup_size: 125
    .name:           fft_rtc_fwd_len3750_factors_3_5_5_10_5_wgs_125_tpt_125_halfLds_dp_ip_CI_unitstride_sbrr_R2C_dirReg
    .private_segment_fixed_size: 0
    .sgpr_count:     34
    .sgpr_spill_count: 0
    .symbol:         fft_rtc_fwd_len3750_factors_3_5_5_10_5_wgs_125_tpt_125_halfLds_dp_ip_CI_unitstride_sbrr_R2C_dirReg.kd
    .uniform_work_group_size: 1
    .uses_dynamic_stack: false
    .vgpr_count:     255
    .vgpr_spill_count: 0
    .wavefront_size: 32
    .workgroup_processor_mode: 1
amdhsa.target:   amdgcn-amd-amdhsa--gfx1201
amdhsa.version:
  - 1
  - 2
...

	.end_amdgpu_metadata
